;; amdgpu-corpus repo=ROCm/rocFFT kind=compiled arch=gfx1201 opt=O3
	.text
	.amdgcn_target "amdgcn-amd-amdhsa--gfx1201"
	.amdhsa_code_object_version 6
	.protected	bluestein_single_back_len2187_dim1_dp_op_CI_CI ; -- Begin function bluestein_single_back_len2187_dim1_dp_op_CI_CI
	.globl	bluestein_single_back_len2187_dim1_dp_op_CI_CI
	.p2align	8
	.type	bluestein_single_back_len2187_dim1_dp_op_CI_CI,@function
bluestein_single_back_len2187_dim1_dp_op_CI_CI: ; @bluestein_single_back_len2187_dim1_dp_op_CI_CI
; %bb.0:
	s_load_b128 s[16:19], s[0:1], 0x28
	v_mul_u32_u24_e32 v1, 0x10e, v0
	s_mov_b32 s2, exec_lo
	v_mov_b32_e32 v3, 0
	s_delay_alu instid0(VALU_DEP_2) | instskip(NEXT) | instid1(VALU_DEP_1)
	v_lshrrev_b32_e32 v1, 16, v1
	v_add_nc_u32_e32 v2, ttmp9, v1
	s_wait_kmcnt 0x0
	s_delay_alu instid0(VALU_DEP_1)
	v_cmpx_gt_u64_e64 s[16:17], v[2:3]
	s_cbranch_execz .LBB0_2
; %bb.1:
	s_clause 0x1
	s_load_b128 s[4:7], s[0:1], 0x18
	s_load_b128 s[8:11], s[0:1], 0x0
	v_mul_lo_u16 v1, 0xf3, v1
	s_load_b64 s[0:1], s[0:1], 0x38
	v_mov_b32_e32 v4, v2
	s_delay_alu instid0(VALU_DEP_2) | instskip(SKIP_3) | instid1(VALU_DEP_2)
	v_sub_nc_u16 v108, v0, v1
	scratch_store_b64 off, v[4:5], off      ; 8-byte Folded Spill
	v_and_b32_e32 v109, 0xffff, v108
	v_and_b32_e32 v110, 0xff, v108
	v_lshlrev_b32_e32 v174, 4, v109
	v_add_co_u32 v148, null, 0xf3, v109
	s_wait_kmcnt 0x0
	s_load_b128 s[12:15], s[4:5], 0x0
	v_add_co_u32 v156, null, 0x1e6, v109
	s_delay_alu instid0(VALU_DEP_1)
	v_dual_mov_b32 v173, v109 :: v_dual_and_b32 v132, 0xffff, v156
	s_wait_kmcnt 0x0
	v_mad_co_u64_u32 v[0:1], null, s14, v2, 0
	v_mad_co_u64_u32 v[2:3], null, s12, v109, 0
	s_mul_u64 s[2:3], s[12:13], 0x2d90
	s_mul_i32 s4, s13, 0xffffb410
	s_delay_alu instid0(SALU_CYCLE_1) | instskip(NEXT) | instid1(VALU_DEP_1)
	s_sub_co_i32 s4, s4, s12
	v_mad_co_u64_u32 v[4:5], null, s15, v4, v[1:2]
	s_delay_alu instid0(VALU_DEP_1) | instskip(SKIP_3) | instid1(VALU_DEP_2)
	v_mad_co_u64_u32 v[5:6], null, s13, v109, v[3:4]
	v_mov_b32_e32 v1, v4
	s_mov_b32 s13, 0xbfebb67a
	v_and_b32_e32 v109, 0xffff, v148
	v_lshlrev_b64_e32 v[0:1], 4, v[0:1]
	s_delay_alu instid0(VALU_DEP_4)
	v_mov_b32_e32 v3, v5
	s_clause 0x2
	global_load_b128 v[8:11], v174, s[8:9]
	global_load_b128 v[4:7], v174, s[8:9] offset:3888
	global_load_b128 v[179:182], v174, s[8:9] offset:15552
	v_add_co_u32 v0, vcc_lo, s18, v0
	v_lshlrev_b64_e32 v[2:3], 4, v[2:3]
	v_add_co_ci_u32_e32 v1, vcc_lo, s19, v1, vcc_lo
	s_delay_alu instid0(VALU_DEP_2) | instskip(SKIP_1) | instid1(VALU_DEP_2)
	v_add_co_u32 v28, vcc_lo, v0, v2
	s_wait_alu 0xfffd
	v_add_co_ci_u32_e32 v29, vcc_lo, v1, v3, vcc_lo
	v_mul_u32_u24_e32 v0, 0xaaab, v109
	s_delay_alu instid0(VALU_DEP_3) | instskip(SKIP_1) | instid1(VALU_DEP_3)
	v_add_co_u32 v30, vcc_lo, v28, s2
	s_wait_alu 0xfffd
	v_add_co_ci_u32_e32 v31, vcc_lo, s3, v29, vcc_lo
	v_mul_lo_u16 v1, 0xab, v110
	s_delay_alu instid0(VALU_DEP_3) | instskip(SKIP_1) | instid1(VALU_DEP_3)
	v_add_co_u32 v32, vcc_lo, v30, s2
	s_wait_alu 0xfffd
	v_add_co_ci_u32_e32 v33, vcc_lo, s3, v31, vcc_lo
	v_mul_u32_u24_e32 v2, 0xaaab, v132
	v_lshrrev_b32_e32 v0, 17, v0
	v_mul_lo_u16 v3, v108, 3
	s_delay_alu instid0(VALU_DEP_4) | instskip(SKIP_2) | instid1(VALU_DEP_4)
	v_mad_co_u64_u32 v[34:35], null, 0xffffb410, s12, v[32:33]
	v_lshrrev_b16 v1, 9, v1
	v_lshrrev_b32_e32 v2, 17, v2
	v_and_b32_e32 v3, 0xffff, v3
	s_delay_alu instid0(VALU_DEP_4)
	v_add_nc_u32_e32 v35, s4, v35
	v_add_co_u32 v52, vcc_lo, v34, s2
	s_clause 0x3
	global_load_b128 v[20:23], v174, s[8:9] offset:23328
	global_load_b128 v[12:15], v174, s[8:9] offset:27216
	;; [unrolled: 1-line block ×4, first 2 shown]
	s_clause 0x3
	global_load_b128 v[36:39], v[28:29], off
	global_load_b128 v[40:43], v[30:31], off
	;; [unrolled: 1-line block ×4, first 2 shown]
	v_lshlrev_b32_e32 v177, 4, v3
	s_wait_alu 0xfffd
	v_add_co_ci_u32_e32 v53, vcc_lo, s3, v35, vcc_lo
	v_add_co_u32 v56, vcc_lo, v52, s2
	s_wait_alu 0xfffd
	s_delay_alu instid0(VALU_DEP_2)
	v_add_co_ci_u32_e32 v57, vcc_lo, s3, v53, vcc_lo
	global_load_b128 v[52:55], v[52:53], off
	v_mad_co_u64_u32 v[60:61], null, 0xffffb410, s12, v[56:57]
	global_load_b128 v[56:59], v[56:57], off
	v_add_nc_u32_e32 v61, s4, v61
	v_add_co_u32 v32, vcc_lo, v60, s2
	s_wait_alu 0xfffd
	s_delay_alu instid0(VALU_DEP_2) | instskip(NEXT) | instid1(VALU_DEP_2)
	v_add_co_ci_u32_e32 v33, vcc_lo, s3, v61, vcc_lo
	v_add_co_u32 v68, vcc_lo, v32, s2
	s_wait_alu 0xfffd
	s_delay_alu instid0(VALU_DEP_2)
	v_add_co_ci_u32_e32 v69, vcc_lo, s3, v33, vcc_lo
	global_load_b128 v[60:63], v[60:61], off
	global_load_b128 v[28:31], v174, s[8:9] offset:19440
	global_load_b128 v[64:67], v[32:33], off
	global_load_b128 v[32:35], v174, s[8:9] offset:31104
	global_load_b128 v[68:71], v[68:69], off
	s_load_b128 s[4:7], s[6:7], 0x0
	s_mov_b32 s2, 0xe8584caa
	s_mov_b32 s3, 0x3febb67a
	s_wait_alu 0xfffe
	s_mov_b32 s12, s2
	s_wait_loadcnt 0xa
	v_mul_f64_e32 v[72:73], v[38:39], v[10:11]
	v_mul_f64_e32 v[74:75], v[36:37], v[10:11]
	s_wait_loadcnt 0x8
	v_mul_f64_e32 v[80:81], v[46:47], v[22:23]
	s_wait_loadcnt 0x7
	v_mul_f64_e32 v[84:85], v[50:51], v[6:7]
	v_mul_f64_e32 v[86:87], v[48:49], v[6:7]
	v_mul_f64_e32 v[82:83], v[44:45], v[22:23]
	v_mul_f64_e32 v[76:77], v[42:43], v[26:27]
	v_mul_f64_e32 v[78:79], v[40:41], v[26:27]
	s_wait_loadcnt 0x6
	v_mul_f64_e32 v[88:89], v[54:55], v[181:182]
	v_mul_f64_e32 v[90:91], v[52:53], v[181:182]
	s_wait_loadcnt 0x5
	v_mul_f64_e32 v[92:93], v[58:59], v[14:15]
	v_mul_f64_e32 v[94:95], v[56:57], v[14:15]
	;; [unrolled: 3-line block ×5, first 2 shown]
	v_fma_f64 v[36:37], v[36:37], v[8:9], v[72:73]
	v_fma_f64 v[38:39], v[38:39], v[8:9], -v[74:75]
	v_fma_f64 v[44:45], v[44:45], v[20:21], v[80:81]
	v_fma_f64 v[48:49], v[48:49], v[4:5], v[84:85]
	v_fma_f64 v[50:51], v[50:51], v[4:5], -v[86:87]
	v_fma_f64 v[46:47], v[46:47], v[20:21], -v[82:83]
	v_fma_f64 v[40:41], v[40:41], v[24:25], v[76:77]
	v_fma_f64 v[42:43], v[42:43], v[24:25], -v[78:79]
	v_fma_f64 v[52:53], v[52:53], v[179:180], v[88:89]
	;; [unrolled: 2-line block ×6, first 2 shown]
	v_fma_f64 v[70:71], v[70:71], v[32:33], -v[106:107]
	ds_store_b128 v174, v[36:39]
	ds_store_b128 v174, v[48:51] offset:3888
	ds_store_b128 v174, v[44:47] offset:23328
	;; [unrolled: 1-line block ×8, first 2 shown]
	global_wb scope:SCOPE_SE
	s_wait_storecnt_dscnt 0x0
	s_wait_kmcnt 0x0
	s_barrier_signal -1
	s_barrier_wait -1
	global_inv scope:SCOPE_SE
	ds_load_b128 v[36:39], v174 offset:11664
	ds_load_b128 v[40:43], v174 offset:23328
	;; [unrolled: 1-line block ×7, first 2 shown]
	ds_load_b128 v[64:67], v174
	ds_load_b128 v[68:71], v174 offset:3888
	scratch_store_b32 off, v173, off offset:8 ; 4-byte Folded Spill
	global_wb scope:SCOPE_SE
	s_wait_storecnt_dscnt 0x0
	s_barrier_signal -1
	s_barrier_wait -1
	global_inv scope:SCOPE_SE
	v_add_f64_e32 v[72:73], v[36:37], v[40:41]
	v_add_f64_e32 v[74:75], v[38:39], v[42:43]
	;; [unrolled: 1-line block ×7, first 2 shown]
	v_add_f64_e64 v[86:87], v[38:39], -v[42:43]
	v_add_f64_e32 v[38:39], v[66:67], v[38:39]
	v_add_f64_e32 v[88:89], v[68:69], v[48:49]
	;; [unrolled: 1-line block ×5, first 2 shown]
	v_add_f64_e64 v[96:97], v[52:53], -v[56:57]
	v_fma_f64 v[64:65], v[72:73], -0.5, v[64:65]
	v_add_f64_e64 v[72:73], v[36:37], -v[40:41]
	v_fma_f64 v[66:67], v[74:75], -0.5, v[66:67]
	;; [unrolled: 2-line block ×5, first 2 shown]
	v_fma_f64 v[82:83], v[82:83], -0.5, v[62:63]
	v_add_f64_e32 v[36:37], v[84:85], v[40:41]
	v_add_f64_e32 v[38:39], v[38:39], v[42:43]
	v_add_f64_e32 v[40:41], v[88:89], v[44:45]
	v_add_f64_e32 v[42:43], v[90:91], v[46:47]
	v_add_f64_e32 v[44:45], v[92:93], v[56:57]
	v_add_f64_e32 v[46:47], v[94:95], v[58:59]
	v_fma_f64 v[48:49], v[86:87], s[2:3], v[64:65]
	s_wait_alu 0xfffe
	v_fma_f64 v[52:53], v[86:87], s[12:13], v[64:65]
	v_fma_f64 v[50:51], v[72:73], s[12:13], v[66:67]
	;; [unrolled: 1-line block ×11, first 2 shown]
	v_mul_lo_u16 v72, v0, 3
	v_mul_lo_u16 v73, v1, 3
	;; [unrolled: 1-line block ×3, first 2 shown]
	v_and_b32_e32 v1, 0xffff, v1
	s_delay_alu instid0(VALU_DEP_4) | instskip(NEXT) | instid1(VALU_DEP_4)
	v_sub_nc_u16 v131, v148, v72
	v_sub_nc_u16 v3, v108, v73
	s_delay_alu instid0(VALU_DEP_4)
	v_sub_nc_u16 v133, v156, v74
	v_mul_u32_u24_e32 v73, 3, v148
	v_mul_u32_u24_e32 v74, 3, v156
	v_lshlrev_b16 v72, 1, v131
	v_and_b32_e32 v3, 0xff, v3
	v_lshlrev_b16 v75, 1, v133
	v_lshlrev_b32_e32 v176, 4, v73
	v_lshlrev_b32_e32 v175, 4, v74
	v_and_b32_e32 v72, 0xffff, v72
	v_lshlrev_b32_e32 v73, 5, v3
	v_and_b32_e32 v74, 0xffff, v75
	ds_store_b128 v177, v[36:39]
	ds_store_b128 v177, v[48:51] offset:16
	ds_store_b128 v177, v[52:55] offset:32
	ds_store_b128 v176, v[40:43]
	ds_store_b128 v176, v[56:59] offset:16
	ds_store_b128 v176, v[60:63] offset:32
	;; [unrolled: 3-line block ×3, first 2 shown]
	v_lshlrev_b32_e32 v72, 4, v72
	global_wb scope:SCOPE_SE
	s_wait_dscnt 0x0
	s_barrier_signal -1
	s_barrier_wait -1
	global_inv scope:SCOPE_SE
	s_clause 0x1
	global_load_b128 v[48:51], v73, s[10:11]
	global_load_b128 v[44:47], v73, s[10:11] offset:16
	v_lshlrev_b32_e32 v52, 4, v74
	s_clause 0x3
	global_load_b128 v[40:43], v72, s[10:11]
	global_load_b128 v[36:39], v72, s[10:11] offset:16
	global_load_b128 v[56:59], v52, s[10:11]
	global_load_b128 v[52:55], v52, s[10:11] offset:16
	ds_load_b128 v[60:63], v174 offset:11664
	ds_load_b128 v[64:67], v174 offset:23328
	;; [unrolled: 1-line block ×7, first 2 shown]
	v_mul_u32_u24_e32 v1, 9, v1
	v_mad_u16 v0, v0, 9, v131
	v_mad_u16 v2, v2, 9, v133
	s_delay_alu instid0(VALU_DEP_3) | instskip(NEXT) | instid1(VALU_DEP_3)
	v_add_lshl_u32 v3, v1, v3, 4
	v_and_b32_e32 v0, 0xffff, v0
	s_wait_loadcnt_dscnt 0x506
	v_mul_f64_e32 v[88:89], v[62:63], v[50:51]
	s_wait_loadcnt_dscnt 0x405
	v_mul_f64_e32 v[90:91], v[66:67], v[46:47]
	v_mul_f64_e32 v[92:93], v[60:61], v[50:51]
	v_mul_f64_e32 v[94:95], v[64:65], v[46:47]
	s_wait_loadcnt_dscnt 0x304
	v_mul_f64_e32 v[96:97], v[70:71], v[42:43]
	s_wait_loadcnt_dscnt 0x203
	v_mul_f64_e32 v[98:99], v[74:75], v[38:39]
	v_mul_f64_e32 v[100:101], v[68:69], v[42:43]
	v_mul_f64_e32 v[102:103], v[72:73], v[38:39]
	;; [unrolled: 6-line block ×3, first 2 shown]
	v_fma_f64 v[88:89], v[60:61], v[48:49], -v[88:89]
	v_fma_f64 v[90:91], v[64:65], v[44:45], -v[90:91]
	v_fma_f64 v[92:93], v[62:63], v[48:49], v[92:93]
	v_fma_f64 v[94:95], v[66:67], v[44:45], v[94:95]
	v_fma_f64 v[68:69], v[68:69], v[40:41], -v[96:97]
	v_fma_f64 v[72:73], v[72:73], v[36:37], -v[98:99]
	v_fma_f64 v[70:71], v[70:71], v[40:41], v[100:101]
	v_fma_f64 v[74:75], v[74:75], v[36:37], v[102:103]
	;; [unrolled: 4-line block ×3, first 2 shown]
	ds_load_b128 v[60:63], v174
	ds_load_b128 v[64:67], v174 offset:3888
	global_wb scope:SCOPE_SE
	s_wait_dscnt 0x0
	s_barrier_signal -1
	s_barrier_wait -1
	global_inv scope:SCOPE_SE
	v_add_f64_e32 v[111:112], v[60:61], v[88:89]
	v_add_f64_e32 v[96:97], v[88:89], v[90:91]
	v_add_f64_e64 v[88:89], v[88:89], -v[90:91]
	v_add_f64_e32 v[98:99], v[92:93], v[94:95]
	v_add_f64_e64 v[113:114], v[92:93], -v[94:95]
	v_add_f64_e32 v[100:101], v[68:69], v[72:73]
	v_add_f64_e32 v[92:93], v[62:63], v[92:93]
	;; [unrolled: 1-line block ×9, first 2 shown]
	v_add_f64_e64 v[123:124], v[70:71], -v[74:75]
	v_add_f64_e64 v[125:126], v[68:69], -v[72:73]
	;; [unrolled: 1-line block ×4, first 2 shown]
	v_fma_f64 v[96:97], v[96:97], -0.5, v[60:61]
	v_mul_lo_u16 v60, v110, 57
	v_fma_f64 v[98:99], v[98:99], -0.5, v[62:63]
	v_mul_u32_u24_e32 v61, 0xe38f, v132
	v_fma_f64 v[100:101], v[100:101], -0.5, v[64:65]
	v_add_f64_e32 v[62:63], v[92:93], v[94:95]
	v_fma_f64 v[102:103], v[102:103], -0.5, v[66:67]
	v_add_f64_e32 v[64:65], v[115:116], v[72:73]
	v_fma_f64 v[104:105], v[104:105], -0.5, v[84:85]
	v_lshrrev_b16 v84, 9, v60
	v_fma_f64 v[106:107], v[106:107], -0.5, v[86:87]
	v_mul_u32_u24_e32 v60, 0xe38f, v109
	v_lshrrev_b32_e32 v85, 19, v61
	v_add_f64_e32 v[66:67], v[117:118], v[74:75]
	v_add_f64_e32 v[68:69], v[119:120], v[80:81]
	v_add_f64_e32 v[70:71], v[121:122], v[82:83]
	v_lshrrev_b32_e32 v86, 19, v60
	v_add_f64_e32 v[60:61], v[111:112], v[90:91]
	v_mul_lo_u16 v87, v84, 9
	v_and_b32_e32 v84, 0xffff, v84
	s_delay_alu instid0(VALU_DEP_2) | instskip(NEXT) | instid1(VALU_DEP_2)
	v_sub_nc_u16 v87, v108, v87
	v_mul_u32_u24_e32 v84, 27, v84
	s_delay_alu instid0(VALU_DEP_2) | instskip(NEXT) | instid1(VALU_DEP_1)
	v_and_b32_e32 v87, 0xff, v87
	v_add_lshl_u32 v183, v84, v87, 4
	v_fma_f64 v[72:73], v[113:114], s[2:3], v[96:97]
	v_fma_f64 v[76:77], v[113:114], s[12:13], v[96:97]
	;; [unrolled: 1-line block ×12, first 2 shown]
	v_mul_lo_u16 v88, v86, 9
	v_mul_lo_u16 v102, v85, 9
	v_and_b32_e32 v103, 0xffff, v2
	v_lshlrev_b32_e32 v104, 5, v87
	v_lshlrev_b32_e32 v2, 4, v0
	v_sub_nc_u16 v89, v148, v88
	v_sub_nc_u16 v88, v156, v102
	v_lshlrev_b32_e32 v178, 4, v103
	ds_store_b128 v3, v[60:63]
	ds_store_b128 v3, v[72:75] offset:48
	ds_store_b128 v3, v[76:79] offset:96
	ds_store_b128 v2, v[64:67]
	ds_store_b128 v2, v[80:83] offset:48
	ds_store_b128 v2, v[90:93] offset:96
	;; [unrolled: 3-line block ×3, first 2 shown]
	v_lshlrev_b16 v1, 5, v89
	v_lshlrev_b16 v102, 5, v88
	global_wb scope:SCOPE_SE
	s_wait_dscnt 0x0
	s_barrier_signal -1
	s_barrier_wait -1
	v_and_b32_e32 v1, 0xffff, v1
	v_and_b32_e32 v105, 0xffff, v102
	global_inv scope:SCOPE_SE
	s_clause 0x1
	global_load_b128 v[64:67], v104, s[10:11] offset:96
	global_load_b128 v[60:63], v104, s[10:11] offset:112
	v_mul_u32_u24_e32 v0, 0x2f69, v109
	v_add_co_u32 v102, s14, s10, v1
	s_wait_alu 0xf1ff
	v_add_co_ci_u32_e64 v103, null, s11, 0, s14
	v_add_co_u32 v76, s14, s10, v105
	s_wait_alu 0xf1ff
	v_add_co_ci_u32_e64 v77, null, s11, 0, s14
	s_clause 0x3
	global_load_b128 v[72:75], v[102:103], off offset:96
	global_load_b128 v[68:71], v[102:103], off offset:112
	;; [unrolled: 1-line block ×4, first 2 shown]
	ds_load_b128 v[90:93], v174 offset:11664
	ds_load_b128 v[94:97], v174 offset:23328
	;; [unrolled: 1-line block ×7, first 2 shown]
	v_mul_u32_u24_e32 v1, 0x2f69, v132
	v_lshrrev_b32_e32 v0, 16, v0
	s_delay_alu instid0(VALU_DEP_2)
	v_lshrrev_b32_e32 v1, 16, v1
	s_wait_loadcnt_dscnt 0x506
	v_mul_f64_e32 v[106:107], v[92:93], v[66:67]
	s_wait_loadcnt_dscnt 0x405
	v_mul_f64_e32 v[123:124], v[96:97], v[62:63]
	v_mul_f64_e32 v[125:126], v[90:91], v[66:67]
	v_mul_f64_e32 v[127:128], v[94:95], v[62:63]
	s_wait_loadcnt_dscnt 0x304
	v_mul_f64_e32 v[129:130], v[100:101], v[74:75]
	s_wait_loadcnt_dscnt 0x203
	v_mul_f64_e32 v[133:134], v[104:105], v[70:71]
	v_mul_f64_e32 v[135:136], v[98:99], v[74:75]
	v_mul_f64_e32 v[137:138], v[102:103], v[70:71]
	;; [unrolled: 6-line block ×3, first 2 shown]
	v_fma_f64 v[106:107], v[90:91], v[64:65], -v[106:107]
	v_fma_f64 v[123:124], v[94:95], v[60:61], -v[123:124]
	v_fma_f64 v[125:126], v[92:93], v[64:65], v[125:126]
	v_fma_f64 v[127:128], v[96:97], v[60:61], v[127:128]
	ds_load_b128 v[90:93], v174
	ds_load_b128 v[94:97], v174 offset:3888
	global_wb scope:SCOPE_SE
	s_wait_dscnt 0x0
	s_barrier_signal -1
	s_barrier_wait -1
	global_inv scope:SCOPE_SE
	v_fma_f64 v[98:99], v[98:99], v[72:73], -v[129:130]
	v_fma_f64 v[102:103], v[102:103], v[68:69], -v[133:134]
	v_fma_f64 v[100:101], v[100:101], v[72:73], v[135:136]
	v_fma_f64 v[104:105], v[104:105], v[68:69], v[137:138]
	v_fma_f64 v[111:112], v[111:112], v[80:81], -v[139:140]
	v_fma_f64 v[115:116], v[115:116], v[76:77], -v[141:142]
	v_fma_f64 v[113:114], v[113:114], v[80:81], v[143:144]
	v_fma_f64 v[117:118], v[117:118], v[76:77], v[145:146]
	v_add_f64_e32 v[143:144], v[90:91], v[106:107]
	v_add_f64_e32 v[129:130], v[106:107], v[123:124]
	v_add_f64_e64 v[106:107], v[106:107], -v[123:124]
	v_add_f64_e32 v[133:134], v[125:126], v[127:128]
	v_add_f64_e64 v[145:146], v[125:126], -v[127:128]
	v_add_f64_e32 v[125:126], v[92:93], v[125:126]
	v_add_f64_e32 v[149:150], v[94:95], v[98:99]
	;; [unrolled: 1-line block ×5, first 2 shown]
	v_add_f64_e64 v[159:160], v[100:101], -v[104:105]
	v_add_f64_e32 v[139:140], v[111:112], v[115:116]
	v_add_f64_e64 v[161:162], v[98:99], -v[102:103]
	v_add_f64_e32 v[141:142], v[113:114], v[117:118]
	v_add_f64_e32 v[157:158], v[121:122], v[113:114]
	;; [unrolled: 1-line block ×3, first 2 shown]
	v_add_f64_e64 v[163:164], v[113:114], -v[117:118]
	v_add_f64_e64 v[112:113], v[111:112], -v[115:116]
	v_fma_f64 v[129:130], v[129:130], -0.5, v[90:91]
	v_sub_nc_u16 v90, v148, v0
	v_fma_f64 v[133:134], v[133:134], -0.5, v[92:93]
	v_mul_lo_u16 v91, v110, 19
	v_sub_nc_u16 v92, v156, v1
	s_delay_alu instid0(VALU_DEP_4) | instskip(NEXT) | instid1(VALU_DEP_3)
	v_lshrrev_b16 v90, 1, v90
	v_lshrrev_b16 v114, 9, v91
	v_fma_f64 v[135:136], v[135:136], -0.5, v[94:95]
	s_delay_alu instid0(VALU_DEP_4)
	v_lshrrev_b16 v91, 1, v92
	v_fma_f64 v[137:138], v[137:138], -0.5, v[96:97]
	v_add_nc_u16 v0, v90, v0
	v_fma_f64 v[139:140], v[139:140], -0.5, v[119:120]
	v_add_f64_e32 v[92:93], v[125:126], v[127:128]
	v_fma_f64 v[141:142], v[141:142], -0.5, v[121:122]
	v_add_nc_u16 v1, v91, v1
	v_add_f64_e32 v[90:91], v[143:144], v[123:124]
	v_add_f64_e32 v[94:95], v[149:150], v[102:103]
	;; [unrolled: 1-line block ×5, first 2 shown]
	v_lshrrev_b16 v111, 4, v0
	v_mul_lo_u16 v131, v114, 27
	s_delay_alu instid0(VALU_DEP_1) | instskip(NEXT) | instid1(VALU_DEP_1)
	v_sub_nc_u16 v0, v108, v131
	v_and_b32_e32 v116, 0xff, v0
	v_mad_u16 v0, v86, 27, v89
	v_fma_f64 v[102:103], v[145:146], s[2:3], v[129:130]
	v_fma_f64 v[117:118], v[145:146], s[12:13], v[129:130]
	;; [unrolled: 1-line block ×4, first 2 shown]
	v_and_b32_e32 v0, 0xffff, v0
	v_lshlrev_b32_e32 v86, 5, v116
	ds_store_b128 v183, v[90:93]
	ds_store_b128 v183, v[102:105] offset:144
	ds_store_b128 v183, v[117:120] offset:288
	v_fma_f64 v[121:122], v[159:160], s[2:3], v[135:136]
	v_fma_f64 v[123:124], v[161:162], s[12:13], v[137:138]
	;; [unrolled: 1-line block ×8, first 2 shown]
	v_lshrrev_b16 v112, 4, v1
	v_mul_lo_u16 v1, v111, 27
	v_lshlrev_b32_e32 v87, 4, v0
	s_delay_alu instid0(VALU_DEP_3) | instskip(NEXT) | instid1(VALU_DEP_3)
	v_mul_lo_u16 v106, v112, 27
	v_sub_nc_u16 v113, v148, v1
	v_mad_u16 v1, v85, 27, v88
	scratch_store_b32 off, v87, off offset:12 ; 4-byte Folded Spill
	v_sub_nc_u16 v115, v156, v106
	v_lshlrev_b16 v84, 5, v113
	v_and_b32_e32 v1, 0xffff, v1
	s_delay_alu instid0(VALU_DEP_3) | instskip(NEXT) | instid1(VALU_DEP_3)
	v_lshlrev_b16 v85, 5, v115
	v_and_b32_e32 v84, 0xffff, v84
	s_delay_alu instid0(VALU_DEP_3)
	v_lshlrev_b32_e32 v255, 4, v1
	ds_store_b128 v87, v[94:97]
	ds_store_b128 v87, v[121:124] offset:144
	ds_store_b128 v87, v[125:128] offset:288
	ds_store_b128 v255, v[98:101]
	ds_store_b128 v255, v[133:136] offset:144
	ds_store_b128 v255, v[137:140] offset:288
	v_and_b32_e32 v0, 0xffff, v85
	v_add_co_u32 v106, s14, s10, v84
	s_wait_alu 0xf1ff
	v_add_co_ci_u32_e64 v107, null, s11, 0, s14
	global_wb scope:SCOPE_SE
	s_wait_storecnt_dscnt 0x0
	s_barrier_signal -1
	s_barrier_wait -1
	global_inv scope:SCOPE_SE
	s_clause 0x1
	global_load_b128 v[88:91], v86, s[10:11] offset:384
	global_load_b128 v[84:87], v86, s[10:11] offset:400
	v_add_co_u32 v100, s14, s10, v0
	s_wait_alu 0xf1ff
	v_add_co_ci_u32_e64 v101, null, s11, 0, s14
	s_clause 0x3
	global_load_b128 v[96:99], v[106:107], off offset:384
	global_load_b128 v[92:95], v[106:107], off offset:400
	global_load_b128 v[104:107], v[100:101], off offset:384
	global_load_b128 v[100:103], v[100:101], off offset:400
	ds_load_b128 v[117:120], v174 offset:11664
	ds_load_b128 v[121:124], v174 offset:23328
	;; [unrolled: 1-line block ×7, first 2 shown]
	v_mul_lo_u16 v0, 0xcb, v110
	v_mul_u32_u24_e32 v1, 0x6523, v132
	v_mul_u32_u24_e32 v132, 0xdb3, v132
	s_delay_alu instid0(VALU_DEP_2) | instskip(NEXT) | instid1(VALU_DEP_2)
	v_lshrrev_b32_e32 v1, 21, v1
	v_lshrrev_b32_e32 v132, 16, v132
	s_wait_loadcnt_dscnt 0x506
	v_mul_f64_e32 v[129:130], v[119:120], v[90:91]
	s_wait_loadcnt_dscnt 0x405
	v_mul_f64_e32 v[145:146], v[123:124], v[86:87]
	v_mul_f64_e32 v[153:154], v[117:118], v[90:91]
	v_mul_f64_e32 v[157:158], v[121:122], v[86:87]
	s_wait_loadcnt_dscnt 0x304
	v_mul_f64_e32 v[159:160], v[127:128], v[98:99]
	s_wait_loadcnt_dscnt 0x203
	v_mul_f64_e32 v[161:162], v[135:136], v[94:95]
	v_mul_f64_e32 v[163:164], v[125:126], v[98:99]
	v_mul_f64_e32 v[165:166], v[133:134], v[94:95]
	;; [unrolled: 6-line block ×3, first 2 shown]
	v_fma_f64 v[129:130], v[117:118], v[88:89], -v[129:130]
	v_fma_f64 v[145:146], v[121:122], v[84:85], -v[145:146]
	v_fma_f64 v[153:154], v[119:120], v[88:89], v[153:154]
	v_fma_f64 v[157:158], v[123:124], v[84:85], v[157:158]
	v_fma_f64 v[125:126], v[125:126], v[96:97], -v[159:160]
	v_fma_f64 v[159:160], v[133:134], v[92:93], -v[161:162]
	v_fma_f64 v[127:128], v[127:128], v[96:97], v[163:164]
	v_fma_f64 v[134:135], v[135:136], v[92:93], v[165:166]
	;; [unrolled: 4-line block ×3, first 2 shown]
	ds_load_b128 v[117:120], v174
	ds_load_b128 v[121:124], v174 offset:3888
	v_lshrrev_b16 v133, 14, v0
	v_mul_u32_u24_e32 v0, 0x6523, v109
	v_and_b32_e32 v109, 0xffff, v114
	global_wb scope:SCOPE_SE
	s_wait_dscnt 0x0
	s_barrier_signal -1
	v_mul_lo_u16 v110, 0x51, v133
	v_lshrrev_b32_e32 v0, 21, v0
	v_mul_u32_u24_e32 v109, 0x51, v109
	s_barrier_wait -1
	global_inv scope:SCOPE_SE
	v_sub_nc_u16 v108, v108, v110
	v_mul_lo_u16 v114, 0x51, v0
	v_mad_u16 v110, 0x51, v111, v113
	v_mad_u16 v111, 0x51, v112, v115
	v_and_b32_e32 v133, 0xffff, v133
	v_and_b32_e32 v172, 0xff, v108
	v_sub_nc_u16 v155, v148, v114
	s_delay_alu instid0(VALU_DEP_1)
	v_lshlrev_b16 v108, 5, v155
	v_mad_u16 v0, 0xf3, v0, v155
	v_add_f64_e32 v[186:187], v[117:118], v[129:130]
	v_add_f64_e32 v[161:162], v[129:130], v[145:146]
	v_add_f64_e64 v[129:130], v[129:130], -v[145:146]
	v_add_f64_e32 v[163:164], v[153:154], v[157:158]
	v_add_f64_e64 v[188:189], v[153:154], -v[157:158]
	v_add_f64_e32 v[165:166], v[125:126], v[159:160]
	v_add_f64_e32 v[153:154], v[119:120], v[153:154]
	;; [unrolled: 1-line block ×9, first 2 shown]
	v_add_f64_e64 v[198:199], v[127:128], -v[134:135]
	v_add_f64_e64 v[200:201], v[125:126], -v[159:160]
	;; [unrolled: 1-line block ×4, first 2 shown]
	v_and_b32_e32 v108, 0xffff, v108
	v_and_b32_e32 v0, 0xffff, v0
	v_fma_f64 v[161:162], v[161:162], -0.5, v[117:118]
	v_add_f64_e32 v[117:118], v[186:187], v[145:146]
	v_fma_f64 v[163:164], v[163:164], -0.5, v[119:120]
	v_fma_f64 v[165:166], v[165:166], -0.5, v[121:122]
	v_add_f64_e32 v[119:120], v[153:154], v[157:158]
	v_fma_f64 v[167:168], v[167:168], -0.5, v[123:124]
	v_add_f64_e32 v[123:124], v[192:193], v[134:135]
	;; [unrolled: 2-line block ×4, first 2 shown]
	v_add_f64_e32 v[127:128], v[196:197], v[143:144]
	v_fma_f64 v[134:135], v[188:189], s[2:3], v[161:162]
	v_fma_f64 v[138:139], v[188:189], s[12:13], v[161:162]
	v_fma_f64 v[136:137], v[129:130], s[12:13], v[163:164]
	v_fma_f64 v[140:141], v[129:130], s[2:3], v[163:164]
	v_fma_f64 v[142:143], v[198:199], s[2:3], v[165:166]
	v_fma_f64 v[149:150], v[198:199], s[12:13], v[165:166]
	v_fma_f64 v[144:145], v[200:201], s[12:13], v[167:168]
	v_fma_f64 v[151:152], v[200:201], s[2:3], v[167:168]
	v_fma_f64 v[157:158], v[202:203], s[2:3], v[169:170]
	v_fma_f64 v[161:162], v[202:203], s[12:13], v[169:170]
	v_fma_f64 v[159:160], v[204:205], s[12:13], v[184:185]
	v_fma_f64 v[163:164], v[204:205], s[2:3], v[184:185]
	v_mul_lo_u16 v129, 0x51, v1
	v_add_lshl_u32 v184, v109, v116, 4
	v_lshlrev_b32_e32 v116, 5, v172
	s_delay_alu instid0(VALU_DEP_3) | instskip(SKIP_3) | instid1(VALU_DEP_3)
	v_sub_nc_u16 v171, v156, v129
	v_add_co_u32 v129, s14, s10, v108
	s_wait_alu 0xf1ff
	v_add_co_ci_u32_e64 v130, null, s11, 0, s14
	v_lshlrev_b16 v109, 5, v171
	v_mad_u16 v1, 0xf3, v1, v171
	v_lshlrev_b32_e32 v171, 5, v173
	s_delay_alu instid0(VALU_DEP_3) | instskip(SKIP_3) | instid1(VALU_DEP_3)
	v_and_b32_e32 v131, 0xffff, v109
	v_and_b32_e32 v109, 0xffff, v110
	;; [unrolled: 1-line block ×4, first 2 shown]
	v_lshlrev_b32_e32 v186, 4, v109
	s_delay_alu instid0(VALU_DEP_3)
	v_lshlrev_b32_e32 v185, 4, v110
	ds_store_b128 v184, v[117:120]
	ds_store_b128 v184, v[134:137] offset:432
	ds_store_b128 v184, v[138:141] offset:864
	ds_store_b128 v186, v[121:124]
	ds_store_b128 v186, v[142:145] offset:432
	ds_store_b128 v186, v[149:152] offset:864
	;; [unrolled: 3-line block ×3, first 2 shown]
	global_wb scope:SCOPE_SE
	s_wait_dscnt 0x0
	s_barrier_signal -1
	s_barrier_wait -1
	global_inv scope:SCOPE_SE
	s_clause 0x1
	global_load_b128 v[112:115], v116, s[10:11] offset:1248
	global_load_b128 v[108:111], v116, s[10:11] offset:1264
	v_add_co_u32 v124, s14, s10, v131
	s_wait_alu 0xf1ff
	v_add_co_ci_u32_e64 v125, null, s11, 0, s14
	s_clause 0x3
	global_load_b128 v[120:123], v[129:130], off offset:1248
	global_load_b128 v[116:119], v[129:130], off offset:1264
	global_load_b128 v[128:131], v[124:125], off offset:1248
	global_load_b128 v[124:127], v[124:125], off offset:1264
	ds_load_b128 v[134:137], v174 offset:11664
	ds_load_b128 v[138:141], v174 offset:23328
	;; [unrolled: 1-line block ×7, first 2 shown]
	s_wait_loadcnt_dscnt 0x506
	v_mul_f64_e32 v[146:147], v[136:137], v[114:115]
	s_wait_loadcnt_dscnt 0x405
	v_mul_f64_e32 v[153:154], v[140:141], v[110:111]
	v_mul_f64_e32 v[169:170], v[134:135], v[114:115]
	v_mul_f64_e32 v[187:188], v[138:139], v[110:111]
	s_wait_loadcnt_dscnt 0x304
	v_mul_f64_e32 v[189:190], v[144:145], v[122:123]
	s_wait_loadcnt_dscnt 0x203
	v_mul_f64_e32 v[191:192], v[151:152], v[118:119]
	v_mul_f64_e32 v[193:194], v[142:143], v[122:123]
	v_mul_f64_e32 v[195:196], v[149:150], v[118:119]
	;; [unrolled: 6-line block ×3, first 2 shown]
	v_fma_f64 v[146:147], v[134:135], v[112:113], -v[146:147]
	v_fma_f64 v[153:154], v[138:139], v[108:109], -v[153:154]
	v_fma_f64 v[169:170], v[136:137], v[112:113], v[169:170]
	v_fma_f64 v[187:188], v[140:141], v[108:109], v[187:188]
	v_fma_f64 v[142:143], v[142:143], v[120:121], -v[189:190]
	v_fma_f64 v[149:150], v[149:150], v[116:117], -v[191:192]
	v_fma_f64 v[144:145], v[144:145], v[120:121], v[193:194]
	v_fma_f64 v[151:152], v[151:152], v[116:117], v[195:196]
	;; [unrolled: 4-line block ×3, first 2 shown]
	ds_load_b128 v[134:137], v174
	ds_load_b128 v[138:141], v174 offset:3888
	global_wb scope:SCOPE_SE
	s_wait_dscnt 0x0
	s_barrier_signal -1
	s_barrier_wait -1
	global_inv scope:SCOPE_SE
	v_add_f64_e32 v[201:202], v[134:135], v[146:147]
	v_add_f64_e32 v[189:190], v[146:147], v[153:154]
	v_add_f64_e64 v[146:147], v[146:147], -v[153:154]
	v_add_f64_e32 v[191:192], v[169:170], v[187:188]
	v_add_f64_e64 v[203:204], v[169:170], -v[187:188]
	v_add_f64_e32 v[193:194], v[142:143], v[149:150]
	v_add_f64_e32 v[169:170], v[136:137], v[169:170]
	;; [unrolled: 1-line block ×9, first 2 shown]
	v_add_f64_e64 v[213:214], v[144:145], -v[151:152]
	v_add_f64_e64 v[215:216], v[142:143], -v[149:150]
	;; [unrolled: 1-line block ×4, first 2 shown]
	v_fma_f64 v[189:190], v[189:190], -0.5, v[134:135]
	v_sub_nc_u16 v134, v156, v132
	v_fma_f64 v[191:192], v[191:192], -0.5, v[136:137]
	v_fma_f64 v[193:194], v[193:194], -0.5, v[138:139]
	v_add_f64_e32 v[136:137], v[169:170], v[187:188]
	v_fma_f64 v[195:196], v[195:196], -0.5, v[140:141]
	v_lshrrev_b16 v134, 1, v134
	v_fma_f64 v[197:198], v[197:198], -0.5, v[165:166]
	v_add_f64_e32 v[138:139], v[205:206], v[149:150]
	v_fma_f64 v[199:200], v[199:200], -0.5, v[167:168]
	v_add_f64_e32 v[140:141], v[207:208], v[151:152]
	v_add_nc_u16 v132, v134, v132
	v_add_f64_e32 v[134:135], v[201:202], v[153:154]
	v_add_f64_e32 v[142:143], v[209:210], v[161:162]
	;; [unrolled: 1-line block ×3, first 2 shown]
	v_lshlrev_b32_e32 v188, 4, v0
	v_lshrrev_b16 v132, 7, v132
	v_lshlrev_b32_e32 v187, 4, v1
	v_lshlrev_b32_e32 v1, 5, v148
	s_delay_alu instid0(VALU_DEP_3) | instskip(NEXT) | instid1(VALU_DEP_1)
	v_mul_lo_u16 v132, 0xf3, v132
	v_sub_nc_u16 v155, v156, v132
	v_mul_u32_u24_e32 v132, 0xf3, v133
	s_delay_alu instid0(VALU_DEP_2) | instskip(NEXT) | instid1(VALU_DEP_1)
	v_lshlrev_b16 v133, 5, v155
	v_and_b32_e32 v0, 0xffff, v133
	v_fma_f64 v[149:150], v[203:204], s[2:3], v[189:190]
	v_fma_f64 v[157:158], v[203:204], s[12:13], v[189:190]
	v_fma_f64 v[151:152], v[146:147], s[12:13], v[191:192]
	v_fma_f64 v[159:160], v[146:147], s[2:3], v[191:192]
	v_fma_f64 v[161:162], v[213:214], s[2:3], v[193:194]
	v_fma_f64 v[165:166], v[213:214], s[12:13], v[193:194]
	v_fma_f64 v[163:164], v[215:216], s[12:13], v[195:196]
	v_fma_f64 v[167:168], v[215:216], s[2:3], v[195:196]
	v_fma_f64 v[190:191], v[217:218], s[2:3], v[197:198]
	v_fma_f64 v[194:195], v[217:218], s[12:13], v[197:198]
	v_fma_f64 v[192:193], v[219:220], s[12:13], v[199:200]
	v_fma_f64 v[196:197], v[219:220], s[2:3], v[199:200]
	v_add_lshl_u32 v189, v132, v172, 4
	ds_store_b128 v189, v[134:137]
	ds_store_b128 v189, v[149:152] offset:1296
	ds_store_b128 v189, v[157:160] offset:2592
	ds_store_b128 v188, v[138:141]
	ds_store_b128 v188, v[161:164] offset:1296
	ds_store_b128 v188, v[165:168] offset:2592
	;; [unrolled: 3-line block ×3, first 2 shown]
	v_add_co_u32 v140, s14, s10, v0
	global_wb scope:SCOPE_SE
	s_wait_dscnt 0x0
	s_barrier_signal -1
	s_barrier_wait -1
	global_inv scope:SCOPE_SE
	s_clause 0x1
	global_load_b128 v[136:139], v171, s[10:11] offset:3840
	global_load_b128 v[132:135], v171, s[10:11] offset:3856
	s_wait_alu 0xf1ff
	v_add_co_ci_u32_e64 v141, null, s11, 0, s14
	s_clause 0x1
	global_load_b128 v[144:147], v[140:141], off offset:3840
	global_load_b128 v[140:143], v[140:141], off offset:3856
	ds_load_b128 v[149:152], v174 offset:11664
	ds_load_b128 v[157:160], v174 offset:23328
	;; [unrolled: 1-line block ×7, first 2 shown]
	v_and_b32_e32 v0, 0xffff, v155
	s_wait_loadcnt_dscnt 0x306
	v_mul_f64_e32 v[153:154], v[151:152], v[138:139]
	s_wait_loadcnt_dscnt 0x205
	v_mul_f64_e32 v[169:170], v[159:160], v[134:135]
	v_mul_f64_e32 v[202:203], v[149:150], v[138:139]
	;; [unrolled: 1-line block ×3, first 2 shown]
	s_wait_dscnt 0x4
	v_mul_f64_e32 v[206:207], v[163:164], v[138:139]
	s_wait_dscnt 0x3
	v_mul_f64_e32 v[208:209], v[167:168], v[134:135]
	v_mul_f64_e32 v[210:211], v[161:162], v[138:139]
	v_mul_f64_e32 v[212:213], v[165:166], v[134:135]
	s_wait_loadcnt_dscnt 0x102
	v_mul_f64_e32 v[214:215], v[192:193], v[146:147]
	s_wait_loadcnt_dscnt 0x1
	v_mul_f64_e32 v[216:217], v[196:197], v[142:143]
	v_mul_f64_e32 v[218:219], v[190:191], v[146:147]
	;; [unrolled: 1-line block ×3, first 2 shown]
	v_fma_f64 v[153:154], v[149:150], v[136:137], -v[153:154]
	v_fma_f64 v[169:170], v[157:158], v[132:133], -v[169:170]
	v_fma_f64 v[202:203], v[151:152], v[136:137], v[202:203]
	v_fma_f64 v[204:205], v[159:160], v[132:133], v[204:205]
	v_fma_f64 v[161:162], v[161:162], v[136:137], -v[206:207]
	v_fma_f64 v[165:166], v[165:166], v[132:133], -v[208:209]
	v_fma_f64 v[163:164], v[163:164], v[136:137], v[210:211]
	v_fma_f64 v[167:168], v[167:168], v[132:133], v[212:213]
	;; [unrolled: 4-line block ×3, first 2 shown]
	ds_load_b128 v[149:152], v174
	ds_load_b128 v[157:160], v174 offset:3888
	global_wb scope:SCOPE_SE
	s_wait_dscnt 0x0
	s_barrier_signal -1
	s_barrier_wait -1
	global_inv scope:SCOPE_SE
	v_add_f64_e32 v[218:219], v[149:150], v[153:154]
	v_add_f64_e32 v[206:207], v[153:154], v[169:170]
	;; [unrolled: 1-line block ×8, first 2 shown]
	v_add_f64_e64 v[202:203], v[202:203], -v[204:205]
	v_add_f64_e32 v[214:215], v[190:191], v[194:195]
	v_add_f64_e64 v[153:154], v[153:154], -v[169:170]
	v_add_f64_e32 v[216:217], v[192:193], v[196:197]
	v_add_f64_e32 v[226:227], v[198:199], v[190:191]
	;; [unrolled: 1-line block ×3, first 2 shown]
	v_add_f64_e64 v[230:231], v[163:164], -v[167:168]
	v_add_f64_e64 v[232:233], v[161:162], -v[165:166]
	;; [unrolled: 1-line block ×4, first 2 shown]
	v_lshlrev_b32_e32 v190, 4, v0
	v_lshlrev_b32_e32 v0, 5, v156
	v_fma_f64 v[206:207], v[206:207], -0.5, v[149:150]
	v_add_f64_e32 v[149:150], v[218:219], v[169:170]
	v_fma_f64 v[208:209], v[208:209], -0.5, v[151:152]
	v_add_f64_e32 v[151:152], v[220:221], v[204:205]
	;; [unrolled: 2-line block ×4, first 2 shown]
	v_fma_f64 v[214:215], v[214:215], -0.5, v[198:199]
	v_fma_f64 v[216:217], v[216:217], -0.5, v[200:201]
	v_add_f64_e32 v[161:162], v[226:227], v[194:195]
	v_add_f64_e32 v[163:164], v[228:229], v[196:197]
	v_fma_f64 v[165:166], v[202:203], s[2:3], v[206:207]
	v_fma_f64 v[191:192], v[202:203], s[12:13], v[206:207]
	v_fma_f64 v[167:168], v[153:154], s[12:13], v[208:209]
	v_fma_f64 v[193:194], v[153:154], s[2:3], v[208:209]
	v_fma_f64 v[195:196], v[230:231], s[2:3], v[210:211]
	v_fma_f64 v[199:200], v[230:231], s[12:13], v[210:211]
	v_fma_f64 v[197:198], v[232:233], s[12:13], v[212:213]
	v_fma_f64 v[201:202], v[232:233], s[2:3], v[212:213]
	v_fma_f64 v[203:204], v[234:235], s[2:3], v[214:215]
	v_fma_f64 v[207:208], v[234:235], s[12:13], v[214:215]
	v_fma_f64 v[205:206], v[236:237], s[12:13], v[216:217]
	v_fma_f64 v[209:210], v[236:237], s[2:3], v[216:217]
	ds_store_b128 v174, v[149:152]
	ds_store_b128 v174, v[165:168] offset:3888
	ds_store_b128 v174, v[157:160] offset:11664
	;; [unrolled: 1-line block ×8, first 2 shown]
	global_wb scope:SCOPE_SE
	s_wait_dscnt 0x0
	s_barrier_signal -1
	s_barrier_wait -1
	global_inv scope:SCOPE_SE
	s_clause 0x5
	global_load_b128 v[152:155], v171, s[10:11] offset:11616
	global_load_b128 v[148:151], v171, s[10:11] offset:11632
	;; [unrolled: 1-line block ×6, first 2 shown]
	ds_load_b128 v[191:194], v174 offset:11664
	ds_load_b128 v[195:198], v174 offset:23328
	;; [unrolled: 1-line block ×7, first 2 shown]
	s_wait_loadcnt_dscnt 0x304
	v_mul_f64_e32 v[227:228], v[201:202], v[162:163]
	v_mul_f64_e32 v[219:220], v[193:194], v[154:155]
	;; [unrolled: 1-line block ×5, first 2 shown]
	s_wait_loadcnt_dscnt 0x203
	v_mul_f64_e32 v[229:230], v[205:206], v[158:159]
	v_mul_f64_e32 v[231:232], v[199:200], v[162:163]
	;; [unrolled: 1-line block ×3, first 2 shown]
	s_wait_loadcnt_dscnt 0x102
	v_mul_f64_e32 v[235:236], v[209:210], v[170:171]
	s_wait_loadcnt_dscnt 0x1
	v_mul_f64_e32 v[237:238], v[213:214], v[166:167]
	v_mul_f64_e32 v[239:240], v[207:208], v[170:171]
	;; [unrolled: 1-line block ×3, first 2 shown]
	v_fma_f64 v[199:200], v[199:200], v[160:161], -v[227:228]
	v_fma_f64 v[219:220], v[191:192], v[152:153], -v[219:220]
	;; [unrolled: 1-line block ×3, first 2 shown]
	v_fma_f64 v[223:224], v[193:194], v[152:153], v[223:224]
	v_fma_f64 v[225:226], v[197:198], v[148:149], v[225:226]
	v_fma_f64 v[203:204], v[203:204], v[156:157], -v[229:230]
	v_fma_f64 v[201:202], v[201:202], v[160:161], v[231:232]
	v_fma_f64 v[205:206], v[205:206], v[156:157], v[233:234]
	v_fma_f64 v[207:208], v[207:208], v[168:169], -v[235:236]
	v_fma_f64 v[211:212], v[211:212], v[164:165], -v[237:238]
	v_fma_f64 v[209:210], v[209:210], v[168:169], v[239:240]
	v_fma_f64 v[213:214], v[213:214], v[164:165], v[241:242]
	ds_load_b128 v[191:194], v174
	ds_load_b128 v[195:198], v174 offset:3888
	s_wait_dscnt 0x0
	v_add_f64_e32 v[243:244], v[195:196], v[199:200]
	v_add_f64_e32 v[239:240], v[191:192], v[219:220]
	;; [unrolled: 1-line block ×8, first 2 shown]
	v_add_f64_e64 v[223:224], v[223:224], -v[225:226]
	v_add_f64_e32 v[235:236], v[207:208], v[211:212]
	v_add_f64_e64 v[219:220], v[219:220], -v[221:222]
	v_add_f64_e32 v[237:238], v[209:210], v[213:214]
	v_add_f64_e64 v[251:252], v[201:202], -v[205:206]
	v_add_f64_e64 v[253:254], v[199:200], -v[203:204]
	v_add_f64_e32 v[247:248], v[217:218], v[209:210]
	v_add_f64_e32 v[249:250], v[215:216], v[207:208]
	v_add_f64_e64 v[172:173], v[209:210], -v[213:214]
	v_add_f64_e64 v[0:1], v[207:208], -v[211:212]
	v_fma_f64 v[227:228], v[227:228], -0.5, v[191:192]
	v_add_f64_e32 v[191:192], v[239:240], v[221:222]
	v_fma_f64 v[229:230], v[229:230], -0.5, v[193:194]
	v_fma_f64 v[231:232], v[231:232], -0.5, v[195:196]
	v_add_f64_e32 v[193:194], v[241:242], v[225:226]
	v_fma_f64 v[233:234], v[233:234], -0.5, v[197:198]
	v_add_f64_e32 v[195:196], v[243:244], v[203:204]
	;; [unrolled: 2-line block ×4, first 2 shown]
	v_add_f64_e32 v[199:200], v[249:250], v[211:212]
	v_fma_f64 v[207:208], v[223:224], s[12:13], v[227:228]
	v_fma_f64 v[203:204], v[223:224], s[2:3], v[227:228]
	v_fma_f64 v[209:210], v[219:220], s[2:3], v[229:230]
	v_fma_f64 v[215:216], v[251:252], s[12:13], v[231:232]
	v_fma_f64 v[205:206], v[219:220], s[12:13], v[229:230]
	v_fma_f64 v[217:218], v[253:254], s[2:3], v[233:234]
	v_fma_f64 v[211:212], v[251:252], s[2:3], v[231:232]
	v_fma_f64 v[213:214], v[253:254], s[12:13], v[233:234]
	v_fma_f64 v[219:220], v[172:173], s[2:3], v[235:236]
	v_fma_f64 v[221:222], v[0:1], s[12:13], v[237:238]
	v_fma_f64 v[223:224], v[172:173], s[12:13], v[235:236]
	v_fma_f64 v[225:226], v[0:1], s[2:3], v[237:238]
	ds_store_b128 v174, v[191:194]
	ds_store_b128 v174, v[195:198] offset:3888
	ds_store_b128 v174, v[207:210] offset:23328
	;; [unrolled: 1-line block ×8, first 2 shown]
	global_wb scope:SCOPE_SE
	s_wait_dscnt 0x0
	s_barrier_signal -1
	s_barrier_wait -1
	global_inv scope:SCOPE_SE
	global_load_b128 v[191:194], v174, s[8:9] offset:34992
	s_add_nc_u64 s[8:9], s[8:9], 0x88b0
	s_clause 0x7
	global_load_b128 v[195:198], v174, s[8:9] offset:11664
	global_load_b128 v[199:202], v174, s[8:9] offset:23328
	;; [unrolled: 1-line block ×8, first 2 shown]
	ds_load_b128 v[227:230], v174
	ds_load_b128 v[231:234], v174 offset:3888
	ds_load_b128 v[235:238], v174 offset:11664
	;; [unrolled: 1-line block ×3, first 2 shown]
	s_wait_loadcnt_dscnt 0x701
	v_mul_f64_e32 v[243:244], v[237:238], v[197:198]
	v_mul_f64_e32 v[0:1], v[229:230], v[193:194]
	;; [unrolled: 1-line block ×3, first 2 shown]
	s_delay_alu instid0(VALU_DEP_2) | instskip(SKIP_1) | instid1(VALU_DEP_3)
	v_fma_f64 v[227:228], v[227:228], v[191:192], -v[0:1]
	v_mul_f64_e32 v[0:1], v[235:236], v[197:198]
	v_fma_f64 v[229:230], v[229:230], v[191:192], v[172:173]
	ds_load_b128 v[191:194], v174 offset:23328
	v_fma_f64 v[235:236], v[235:236], v[195:196], -v[243:244]
	v_fma_f64 v[237:238], v[237:238], v[195:196], v[0:1]
	ds_load_b128 v[195:198], v174 offset:27216
	s_wait_loadcnt_dscnt 0x601
	v_mul_f64_e32 v[0:1], v[193:194], v[201:202]
	v_mul_f64_e32 v[172:173], v[191:192], v[201:202]
	s_delay_alu instid0(VALU_DEP_2) | instskip(NEXT) | instid1(VALU_DEP_2)
	v_fma_f64 v[191:192], v[191:192], v[199:200], -v[0:1]
	v_fma_f64 v[193:194], v[193:194], v[199:200], v[172:173]
	s_wait_loadcnt 0x5
	v_mul_f64_e32 v[0:1], v[233:234], v[205:206]
	v_mul_f64_e32 v[172:173], v[231:232], v[205:206]
	ds_load_b128 v[199:202], v174 offset:31104
	v_fma_f64 v[231:232], v[231:232], v[203:204], -v[0:1]
	v_fma_f64 v[233:234], v[233:234], v[203:204], v[172:173]
	ds_load_b128 v[203:206], v174 offset:15552
	ds_load_b128 v[243:246], v174 offset:19440
	s_wait_loadcnt_dscnt 0x401
	v_mul_f64_e32 v[0:1], v[205:206], v[209:210]
	v_mul_f64_e32 v[172:173], v[203:204], v[209:210]
	s_delay_alu instid0(VALU_DEP_2) | instskip(SKIP_2) | instid1(VALU_DEP_3)
	v_fma_f64 v[203:204], v[203:204], v[207:208], -v[0:1]
	s_wait_loadcnt 0x3
	v_mul_f64_e32 v[0:1], v[197:198], v[213:214]
	v_fma_f64 v[205:206], v[205:206], v[207:208], v[172:173]
	v_mul_f64_e32 v[172:173], v[195:196], v[213:214]
	s_wait_loadcnt 0x2
	v_mul_f64_e32 v[207:208], v[241:242], v[217:218]
	s_wait_loadcnt_dscnt 0x100
	v_mul_f64_e32 v[213:214], v[243:244], v[221:222]
	v_fma_f64 v[195:196], v[195:196], v[211:212], -v[0:1]
	v_mul_f64_e32 v[0:1], v[239:240], v[217:218]
	v_fma_f64 v[197:198], v[197:198], v[211:212], v[172:173]
	v_mul_f64_e32 v[172:173], v[245:246], v[221:222]
	s_wait_loadcnt 0x0
	v_mul_f64_e32 v[217:218], v[201:202], v[225:226]
	v_fma_f64 v[207:208], v[239:240], v[215:216], -v[207:208]
	v_fma_f64 v[213:214], v[245:246], v[219:220], v[213:214]
	v_fma_f64 v[209:210], v[241:242], v[215:216], v[0:1]
	v_mul_f64_e32 v[0:1], v[199:200], v[225:226]
	v_fma_f64 v[211:212], v[243:244], v[219:220], -v[172:173]
	v_fma_f64 v[199:200], v[199:200], v[223:224], -v[217:218]
	s_delay_alu instid0(VALU_DEP_3)
	v_fma_f64 v[201:202], v[201:202], v[223:224], v[0:1]
	ds_store_b128 v174, v[227:230]
	ds_store_b128 v174, v[231:234] offset:3888
	ds_store_b128 v174, v[191:194] offset:23328
	;; [unrolled: 1-line block ×8, first 2 shown]
	global_wb scope:SCOPE_SE
	s_wait_dscnt 0x0
	s_barrier_signal -1
	s_barrier_wait -1
	global_inv scope:SCOPE_SE
	ds_load_b128 v[191:194], v174 offset:11664
	ds_load_b128 v[195:198], v174 offset:23328
	;; [unrolled: 1-line block ×7, first 2 shown]
	ds_load_b128 v[219:222], v174
	ds_load_b128 v[223:226], v174 offset:3888
	global_wb scope:SCOPE_SE
	s_wait_dscnt 0x0
	s_barrier_signal -1
	s_barrier_wait -1
	global_inv scope:SCOPE_SE
	v_add_f64_e32 v[0:1], v[191:192], v[195:196]
	v_add_f64_e32 v[172:173], v[193:194], v[197:198]
	;; [unrolled: 1-line block ×8, first 2 shown]
	v_add_f64_e64 v[243:244], v[193:194], -v[197:198]
	v_add_f64_e64 v[245:246], v[191:192], -v[195:196]
	v_add_f64_e32 v[239:240], v[223:224], v[203:204]
	v_add_f64_e32 v[241:242], v[225:226], v[205:206]
	;; [unrolled: 1-line block ×4, first 2 shown]
	v_fma_f64 v[0:1], v[0:1], -0.5, v[219:220]
	v_fma_f64 v[172:173], v[172:173], -0.5, v[221:222]
	v_add_f64_e64 v[219:220], v[205:206], -v[201:202]
	v_fma_f64 v[221:222], v[227:228], -0.5, v[223:224]
	v_add_f64_e64 v[223:224], v[203:204], -v[199:200]
	;; [unrolled: 2-line block ×4, first 2 shown]
	v_fma_f64 v[233:234], v[233:234], -0.5, v[217:218]
	v_add_f64_e32 v[191:192], v[235:236], v[195:196]
	v_add_f64_e32 v[193:194], v[237:238], v[197:198]
	;; [unrolled: 1-line block ×6, first 2 shown]
	v_fma_f64 v[203:204], v[243:244], s[12:13], v[0:1]
	v_fma_f64 v[205:206], v[245:246], s[2:3], v[172:173]
	;; [unrolled: 1-line block ×12, first 2 shown]
	ds_store_b128 v177, v[191:194]
	ds_store_b128 v177, v[203:206] offset:16
	ds_store_b128 v177, v[207:210] offset:32
	ds_store_b128 v176, v[195:198]
	ds_store_b128 v176, v[211:214] offset:16
	ds_store_b128 v176, v[215:218] offset:32
	;; [unrolled: 3-line block ×3, first 2 shown]
	global_wb scope:SCOPE_SE
	s_wait_dscnt 0x0
	s_barrier_signal -1
	s_barrier_wait -1
	global_inv scope:SCOPE_SE
	ds_load_b128 v[191:194], v174 offset:11664
	ds_load_b128 v[195:198], v174 offset:23328
	;; [unrolled: 1-line block ×7, first 2 shown]
	s_wait_dscnt 0x6
	v_mul_f64_e32 v[0:1], v[50:51], v[193:194]
	s_wait_dscnt 0x5
	v_mul_f64_e32 v[172:173], v[46:47], v[197:198]
	v_mul_f64_e32 v[50:51], v[50:51], v[191:192]
	v_mul_f64_e32 v[46:47], v[46:47], v[195:196]
	s_wait_dscnt 0x4
	v_mul_f64_e32 v[175:176], v[42:43], v[201:202]
	s_wait_dscnt 0x3
	v_mul_f64_e32 v[219:220], v[38:39], v[205:206]
	v_mul_f64_e32 v[42:43], v[42:43], v[199:200]
	v_mul_f64_e32 v[38:39], v[38:39], v[203:204]
	;; [unrolled: 6-line block ×3, first 2 shown]
	v_fma_f64 v[0:1], v[48:49], v[191:192], v[0:1]
	v_fma_f64 v[172:173], v[44:45], v[195:196], v[172:173]
	v_fma_f64 v[48:49], v[48:49], v[193:194], -v[50:51]
	v_fma_f64 v[44:45], v[44:45], v[197:198], -v[46:47]
	v_fma_f64 v[46:47], v[40:41], v[199:200], v[175:176]
	v_fma_f64 v[50:51], v[36:37], v[203:204], v[219:220]
	v_fma_f64 v[175:176], v[40:41], v[201:202], -v[42:43]
	v_fma_f64 v[191:192], v[36:37], v[205:206], -v[38:39]
	;; [unrolled: 4-line block ×3, first 2 shown]
	ds_load_b128 v[36:39], v174
	ds_load_b128 v[40:43], v174 offset:3888
	global_wb scope:SCOPE_SE
	s_wait_dscnt 0x0
	s_barrier_signal -1
	s_barrier_wait -1
	global_inv scope:SCOPE_SE
	v_add_f64_e32 v[205:206], v[36:37], v[0:1]
	v_add_f64_e32 v[54:55], v[0:1], v[172:173]
	v_add_f64_e64 v[0:1], v[0:1], -v[172:173]
	v_add_f64_e32 v[58:59], v[48:49], v[44:45]
	v_add_f64_e64 v[207:208], v[48:49], -v[44:45]
	v_add_f64_e32 v[197:198], v[46:47], v[50:51]
	v_add_f64_e32 v[48:49], v[38:39], v[48:49]
	v_add_f64_e32 v[199:200], v[175:176], v[191:192]
	v_add_f64_e32 v[209:210], v[40:41], v[46:47]
	v_add_f64_e32 v[201:202], v[193:194], v[195:196]
	v_add_f64_e32 v[219:220], v[217:218], v[56:57]
	v_add_f64_e32 v[203:204], v[56:57], v[52:53]
	v_add_f64_e32 v[211:212], v[42:43], v[175:176]
	v_add_f64_e64 v[175:176], v[175:176], -v[191:192]
	v_add_f64_e64 v[221:222], v[46:47], -v[50:51]
	v_add_f64_e32 v[213:214], v[215:216], v[193:194]
	v_add_f64_e64 v[223:224], v[56:57], -v[52:53]
	v_fma_f64 v[54:55], v[54:55], -0.5, v[36:37]
	v_add_f64_e32 v[36:37], v[205:206], v[172:173]
	v_fma_f64 v[58:59], v[58:59], -0.5, v[38:39]
	v_fma_f64 v[197:198], v[197:198], -0.5, v[40:41]
	v_add_f64_e32 v[38:39], v[48:49], v[44:45]
	v_fma_f64 v[199:200], v[199:200], -0.5, v[42:43]
	v_add_f64_e32 v[40:41], v[209:210], v[50:51]
	v_fma_f64 v[201:202], v[201:202], -0.5, v[215:216]
	v_add_f64_e64 v[215:216], v[193:194], -v[195:196]
	v_fma_f64 v[203:204], v[203:204], -0.5, v[217:218]
	v_add_f64_e32 v[46:47], v[219:220], v[52:53]
	v_add_f64_e32 v[42:43], v[211:212], v[191:192]
	v_add_f64_e32 v[44:45], v[213:214], v[195:196]
	v_fma_f64 v[48:49], v[207:208], s[12:13], v[54:55]
	v_fma_f64 v[52:53], v[207:208], s[2:3], v[54:55]
	;; [unrolled: 1-line block ×12, first 2 shown]
	ds_store_b128 v3, v[36:39]
	ds_store_b128 v3, v[48:51] offset:48
	ds_store_b128 v3, v[52:55] offset:96
	ds_store_b128 v2, v[40:43]
	ds_store_b128 v2, v[56:59] offset:48
	ds_store_b128 v2, v[191:194] offset:96
	;; [unrolled: 3-line block ×3, first 2 shown]
	global_wb scope:SCOPE_SE
	s_wait_dscnt 0x0
	s_barrier_signal -1
	s_barrier_wait -1
	global_inv scope:SCOPE_SE
	ds_load_b128 v[36:39], v174 offset:11664
	ds_load_b128 v[40:43], v174 offset:23328
	;; [unrolled: 1-line block ×7, first 2 shown]
	s_wait_dscnt 0x6
	v_mul_f64_e32 v[0:1], v[66:67], v[38:39]
	s_wait_dscnt 0x5
	v_mul_f64_e32 v[2:3], v[62:63], v[42:43]
	v_mul_f64_e32 v[66:67], v[66:67], v[36:37]
	v_mul_f64_e32 v[62:63], v[62:63], v[40:41]
	s_wait_dscnt 0x4
	v_mul_f64_e32 v[172:173], v[74:75], v[46:47]
	s_wait_dscnt 0x3
	v_mul_f64_e32 v[191:192], v[70:71], v[50:51]
	v_mul_f64_e32 v[74:75], v[74:75], v[44:45]
	v_mul_f64_e32 v[70:71], v[70:71], v[48:49]
	;; [unrolled: 6-line block ×3, first 2 shown]
	v_fma_f64 v[0:1], v[64:65], v[36:37], v[0:1]
	v_fma_f64 v[2:3], v[60:61], v[40:41], v[2:3]
	v_fma_f64 v[64:65], v[64:65], v[38:39], -v[66:67]
	v_fma_f64 v[60:61], v[60:61], v[42:43], -v[62:63]
	v_fma_f64 v[44:45], v[72:73], v[44:45], v[172:173]
	v_fma_f64 v[48:49], v[68:69], v[48:49], v[191:192]
	v_fma_f64 v[46:47], v[72:73], v[46:47], -v[74:75]
	v_fma_f64 v[50:51], v[68:69], v[50:51], -v[70:71]
	v_fma_f64 v[52:53], v[80:81], v[52:53], v[193:194]
	v_fma_f64 v[56:57], v[76:77], v[56:57], v[195:196]
	ds_load_b128 v[36:39], v174
	ds_load_b128 v[40:43], v174 offset:3888
	v_fma_f64 v[58:59], v[76:77], v[58:59], -v[78:79]
	v_fma_f64 v[54:55], v[80:81], v[54:55], -v[82:83]
	global_wb scope:SCOPE_SE
	s_wait_dscnt 0x0
	s_barrier_signal -1
	s_barrier_wait -1
	global_inv scope:SCOPE_SE
	v_add_f64_e32 v[76:77], v[36:37], v[0:1]
	v_add_f64_e32 v[62:63], v[0:1], v[2:3]
	v_add_f64_e64 v[0:1], v[0:1], -v[2:3]
	v_add_f64_e32 v[66:67], v[64:65], v[60:61]
	v_add_f64_e64 v[78:79], v[64:65], -v[60:61]
	v_add_f64_e32 v[64:65], v[38:39], v[64:65]
	v_add_f64_e32 v[68:69], v[44:45], v[48:49]
	;; [unrolled: 1-line block ×6, first 2 shown]
	v_add_f64_e64 v[193:194], v[46:47], -v[50:51]
	v_add_f64_e64 v[195:196], v[44:45], -v[48:49]
	v_add_f64_e32 v[74:75], v[54:55], v[58:59]
	v_add_f64_e32 v[172:173], v[175:176], v[52:53]
	v_add_f64_e32 v[191:192], v[177:178], v[54:55]
	v_add_f64_e64 v[197:198], v[54:55], -v[58:59]
	v_fma_f64 v[62:63], v[62:63], -0.5, v[36:37]
	v_add_f64_e32 v[36:37], v[76:77], v[2:3]
	v_fma_f64 v[66:67], v[66:67], -0.5, v[38:39]
	v_add_f64_e32 v[38:39], v[64:65], v[60:61]
	v_fma_f64 v[68:69], v[68:69], -0.5, v[40:41]
	v_fma_f64 v[70:71], v[70:71], -0.5, v[42:43]
	v_add_f64_e32 v[40:41], v[80:81], v[48:49]
	v_add_f64_e32 v[42:43], v[82:83], v[50:51]
	v_fma_f64 v[72:73], v[72:73], -0.5, v[175:176]
	v_add_f64_e64 v[175:176], v[52:53], -v[56:57]
	v_fma_f64 v[74:75], v[74:75], -0.5, v[177:178]
	v_add_f64_e32 v[44:45], v[172:173], v[56:57]
	v_add_f64_e32 v[46:47], v[191:192], v[58:59]
	v_fma_f64 v[48:49], v[78:79], s[12:13], v[62:63]
	v_fma_f64 v[52:53], v[78:79], s[2:3], v[62:63]
	;; [unrolled: 1-line block ×4, first 2 shown]
	ds_store_b128 v183, v[36:39]
	ds_store_b128 v183, v[48:51] offset:144
	ds_store_b128 v183, v[52:55] offset:288
	scratch_load_b32 v0, off, off offset:12 th:TH_LOAD_LU ; 4-byte Folded Reload
	v_fma_f64 v[56:57], v[193:194], s[12:13], v[68:69]
	v_fma_f64 v[58:59], v[195:196], s[2:3], v[70:71]
	v_fma_f64 v[60:61], v[193:194], s[2:3], v[68:69]
	v_fma_f64 v[62:63], v[195:196], s[12:13], v[70:71]
	v_fma_f64 v[64:65], v[197:198], s[12:13], v[72:73]
	v_fma_f64 v[66:67], v[175:176], s[2:3], v[74:75]
	v_fma_f64 v[68:69], v[197:198], s[2:3], v[72:73]
	v_fma_f64 v[70:71], v[175:176], s[12:13], v[74:75]
	s_wait_loadcnt 0x0
	ds_store_b128 v0, v[40:43]
	ds_store_b128 v0, v[56:59] offset:144
	ds_store_b128 v0, v[60:63] offset:288
	ds_store_b128 v255, v[44:47]
	ds_store_b128 v255, v[64:67] offset:144
	ds_store_b128 v255, v[68:71] offset:288
	global_wb scope:SCOPE_SE
	s_wait_dscnt 0x0
	s_barrier_signal -1
	s_barrier_wait -1
	global_inv scope:SCOPE_SE
	ds_load_b128 v[36:39], v174 offset:11664
	ds_load_b128 v[40:43], v174 offset:23328
	;; [unrolled: 1-line block ×7, first 2 shown]
	s_wait_dscnt 0x6
	v_mul_f64_e32 v[0:1], v[90:91], v[38:39]
	s_wait_dscnt 0x5
	v_mul_f64_e32 v[2:3], v[86:87], v[42:43]
	v_mul_f64_e32 v[64:65], v[90:91], v[36:37]
	v_mul_f64_e32 v[66:67], v[86:87], v[40:41]
	s_wait_dscnt 0x4
	v_mul_f64_e32 v[68:69], v[98:99], v[46:47]
	s_wait_dscnt 0x3
	v_mul_f64_e32 v[70:71], v[94:95], v[50:51]
	v_mul_f64_e32 v[72:73], v[98:99], v[44:45]
	v_mul_f64_e32 v[74:75], v[94:95], v[48:49]
	;; [unrolled: 6-line block ×3, first 2 shown]
	v_fma_f64 v[0:1], v[88:89], v[36:37], v[0:1]
	v_fma_f64 v[2:3], v[84:85], v[40:41], v[2:3]
	v_fma_f64 v[64:65], v[88:89], v[38:39], -v[64:65]
	v_fma_f64 v[66:67], v[84:85], v[42:43], -v[66:67]
	v_fma_f64 v[44:45], v[96:97], v[44:45], v[68:69]
	v_fma_f64 v[48:49], v[92:93], v[48:49], v[70:71]
	v_fma_f64 v[46:47], v[96:97], v[46:47], -v[72:73]
	v_fma_f64 v[50:51], v[92:93], v[50:51], -v[74:75]
	;; [unrolled: 4-line block ×3, first 2 shown]
	ds_load_b128 v[36:39], v174
	ds_load_b128 v[40:43], v174 offset:3888
	global_wb scope:SCOPE_SE
	s_wait_dscnt 0x0
	s_barrier_signal -1
	s_barrier_wait -1
	global_inv scope:SCOPE_SE
	v_add_f64_e32 v[80:81], v[36:37], v[0:1]
	v_add_f64_e32 v[68:69], v[0:1], v[2:3]
	v_add_f64_e64 v[0:1], v[0:1], -v[2:3]
	v_add_f64_e32 v[70:71], v[64:65], v[66:67]
	v_add_f64_e64 v[82:83], v[64:65], -v[66:67]
	v_add_f64_e32 v[72:73], v[44:45], v[48:49]
	v_add_f64_e32 v[64:65], v[38:39], v[64:65]
	;; [unrolled: 1-line block ×9, first 2 shown]
	v_add_f64_e64 v[92:93], v[46:47], -v[50:51]
	v_add_f64_e64 v[94:95], v[44:45], -v[48:49]
	;; [unrolled: 1-line block ×4, first 2 shown]
	v_fma_f64 v[68:69], v[68:69], -0.5, v[36:37]
	v_add_f64_e32 v[36:37], v[80:81], v[2:3]
	v_fma_f64 v[70:71], v[70:71], -0.5, v[38:39]
	v_fma_f64 v[72:73], v[72:73], -0.5, v[40:41]
	v_add_f64_e32 v[38:39], v[64:65], v[66:67]
	v_fma_f64 v[74:75], v[74:75], -0.5, v[42:43]
	v_add_f64_e32 v[40:41], v[84:85], v[48:49]
	;; [unrolled: 2-line block ×4, first 2 shown]
	v_add_f64_e32 v[46:47], v[90:91], v[58:59]
	v_fma_f64 v[48:49], v[82:83], s[12:13], v[68:69]
	v_fma_f64 v[52:53], v[82:83], s[2:3], v[68:69]
	;; [unrolled: 1-line block ×12, first 2 shown]
	ds_store_b128 v184, v[36:39]
	ds_store_b128 v184, v[48:51] offset:432
	ds_store_b128 v184, v[52:55] offset:864
	ds_store_b128 v186, v[40:43]
	ds_store_b128 v186, v[56:59] offset:432
	ds_store_b128 v186, v[60:63] offset:864
	;; [unrolled: 3-line block ×3, first 2 shown]
	global_wb scope:SCOPE_SE
	s_wait_dscnt 0x0
	s_barrier_signal -1
	s_barrier_wait -1
	global_inv scope:SCOPE_SE
	ds_load_b128 v[36:39], v174 offset:11664
	ds_load_b128 v[40:43], v174 offset:23328
	;; [unrolled: 1-line block ×7, first 2 shown]
	s_wait_dscnt 0x6
	v_mul_f64_e32 v[0:1], v[114:115], v[38:39]
	s_wait_dscnt 0x5
	v_mul_f64_e32 v[2:3], v[110:111], v[42:43]
	v_mul_f64_e32 v[64:65], v[114:115], v[36:37]
	v_mul_f64_e32 v[66:67], v[110:111], v[40:41]
	s_wait_dscnt 0x4
	v_mul_f64_e32 v[68:69], v[122:123], v[46:47]
	s_wait_dscnt 0x3
	v_mul_f64_e32 v[70:71], v[118:119], v[50:51]
	v_mul_f64_e32 v[72:73], v[122:123], v[44:45]
	v_mul_f64_e32 v[74:75], v[118:119], v[48:49]
	;; [unrolled: 6-line block ×3, first 2 shown]
	v_fma_f64 v[0:1], v[112:113], v[36:37], v[0:1]
	v_fma_f64 v[2:3], v[108:109], v[40:41], v[2:3]
	v_fma_f64 v[64:65], v[112:113], v[38:39], -v[64:65]
	v_fma_f64 v[66:67], v[108:109], v[42:43], -v[66:67]
	v_fma_f64 v[44:45], v[120:121], v[44:45], v[68:69]
	v_fma_f64 v[48:49], v[116:117], v[48:49], v[70:71]
	v_fma_f64 v[46:47], v[120:121], v[46:47], -v[72:73]
	v_fma_f64 v[50:51], v[116:117], v[50:51], -v[74:75]
	v_fma_f64 v[52:53], v[128:129], v[52:53], v[76:77]
	v_fma_f64 v[56:57], v[124:125], v[56:57], v[78:79]
	v_fma_f64 v[54:55], v[128:129], v[54:55], -v[80:81]
	v_fma_f64 v[58:59], v[124:125], v[58:59], -v[82:83]
	ds_load_b128 v[36:39], v174
	ds_load_b128 v[40:43], v174 offset:3888
	global_wb scope:SCOPE_SE
	s_wait_dscnt 0x0
	s_barrier_signal -1
	s_barrier_wait -1
	global_inv scope:SCOPE_SE
	v_add_f64_e32 v[80:81], v[36:37], v[0:1]
	v_add_f64_e32 v[68:69], v[0:1], v[2:3]
	v_add_f64_e64 v[0:1], v[0:1], -v[2:3]
	v_add_f64_e32 v[70:71], v[64:65], v[66:67]
	v_add_f64_e64 v[82:83], v[64:65], -v[66:67]
	v_add_f64_e32 v[72:73], v[44:45], v[48:49]
	v_add_f64_e32 v[64:65], v[38:39], v[64:65]
	;; [unrolled: 1-line block ×9, first 2 shown]
	v_add_f64_e64 v[92:93], v[46:47], -v[50:51]
	v_add_f64_e64 v[94:95], v[44:45], -v[48:49]
	;; [unrolled: 1-line block ×4, first 2 shown]
	v_fma_f64 v[68:69], v[68:69], -0.5, v[36:37]
	v_add_f64_e32 v[36:37], v[80:81], v[2:3]
	v_fma_f64 v[70:71], v[70:71], -0.5, v[38:39]
	v_fma_f64 v[72:73], v[72:73], -0.5, v[40:41]
	v_add_f64_e32 v[38:39], v[64:65], v[66:67]
	v_fma_f64 v[74:75], v[74:75], -0.5, v[42:43]
	v_add_f64_e32 v[40:41], v[84:85], v[48:49]
	v_fma_f64 v[76:77], v[76:77], -0.5, v[60:61]
	v_add_f64_e32 v[42:43], v[86:87], v[50:51]
	v_fma_f64 v[78:79], v[78:79], -0.5, v[62:63]
	v_add_f64_e32 v[44:45], v[88:89], v[56:57]
	v_add_f64_e32 v[46:47], v[90:91], v[58:59]
	v_fma_f64 v[48:49], v[82:83], s[12:13], v[68:69]
	v_fma_f64 v[52:53], v[82:83], s[2:3], v[68:69]
	;; [unrolled: 1-line block ×12, first 2 shown]
	ds_store_b128 v189, v[36:39]
	ds_store_b128 v189, v[48:51] offset:1296
	ds_store_b128 v189, v[52:55] offset:2592
	ds_store_b128 v188, v[40:43]
	ds_store_b128 v188, v[56:59] offset:1296
	ds_store_b128 v188, v[60:63] offset:2592
	ds_store_b128 v187, v[44:47]
	ds_store_b128 v187, v[64:67] offset:1296
	ds_store_b128 v187, v[68:71] offset:2592
	global_wb scope:SCOPE_SE
	s_wait_dscnt 0x0
	s_barrier_signal -1
	s_barrier_wait -1
	global_inv scope:SCOPE_SE
	ds_load_b128 v[36:39], v174 offset:11664
	ds_load_b128 v[40:43], v174 offset:23328
	;; [unrolled: 1-line block ×7, first 2 shown]
	s_wait_dscnt 0x6
	v_mul_f64_e32 v[0:1], v[138:139], v[38:39]
	s_wait_dscnt 0x5
	v_mul_f64_e32 v[2:3], v[134:135], v[42:43]
	v_mul_f64_e32 v[64:65], v[138:139], v[36:37]
	v_mul_f64_e32 v[66:67], v[134:135], v[40:41]
	s_wait_dscnt 0x4
	v_mul_f64_e32 v[68:69], v[138:139], v[46:47]
	s_wait_dscnt 0x3
	v_mul_f64_e32 v[70:71], v[134:135], v[50:51]
	v_mul_f64_e32 v[72:73], v[138:139], v[44:45]
	v_mul_f64_e32 v[74:75], v[134:135], v[48:49]
	;; [unrolled: 6-line block ×3, first 2 shown]
	v_fma_f64 v[0:1], v[136:137], v[36:37], v[0:1]
	v_fma_f64 v[2:3], v[132:133], v[40:41], v[2:3]
	v_fma_f64 v[64:65], v[136:137], v[38:39], -v[64:65]
	v_fma_f64 v[66:67], v[132:133], v[42:43], -v[66:67]
	v_fma_f64 v[44:45], v[136:137], v[44:45], v[68:69]
	v_fma_f64 v[48:49], v[132:133], v[48:49], v[70:71]
	v_fma_f64 v[46:47], v[136:137], v[46:47], -v[72:73]
	v_fma_f64 v[50:51], v[132:133], v[50:51], -v[74:75]
	;; [unrolled: 4-line block ×3, first 2 shown]
	ds_load_b128 v[36:39], v174
	ds_load_b128 v[40:43], v174 offset:3888
	global_wb scope:SCOPE_SE
	s_wait_dscnt 0x0
	s_barrier_signal -1
	s_barrier_wait -1
	global_inv scope:SCOPE_SE
	v_add_f64_e32 v[80:81], v[36:37], v[0:1]
	v_add_f64_e32 v[68:69], v[0:1], v[2:3]
	v_add_f64_e64 v[0:1], v[0:1], -v[2:3]
	v_add_f64_e32 v[70:71], v[64:65], v[66:67]
	v_add_f64_e64 v[82:83], v[64:65], -v[66:67]
	v_add_f64_e32 v[72:73], v[44:45], v[48:49]
	v_add_f64_e32 v[64:65], v[38:39], v[64:65]
	;; [unrolled: 1-line block ×9, first 2 shown]
	v_add_f64_e64 v[92:93], v[46:47], -v[50:51]
	v_add_f64_e64 v[94:95], v[44:45], -v[48:49]
	;; [unrolled: 1-line block ×4, first 2 shown]
	v_fma_f64 v[68:69], v[68:69], -0.5, v[36:37]
	v_add_f64_e32 v[36:37], v[80:81], v[2:3]
	v_fma_f64 v[70:71], v[70:71], -0.5, v[38:39]
	v_fma_f64 v[72:73], v[72:73], -0.5, v[40:41]
	v_add_f64_e32 v[38:39], v[64:65], v[66:67]
	v_fma_f64 v[74:75], v[74:75], -0.5, v[42:43]
	v_add_f64_e32 v[40:41], v[84:85], v[48:49]
	;; [unrolled: 2-line block ×4, first 2 shown]
	v_add_f64_e32 v[46:47], v[90:91], v[58:59]
	v_fma_f64 v[48:49], v[82:83], s[12:13], v[68:69]
	v_fma_f64 v[52:53], v[82:83], s[2:3], v[68:69]
	;; [unrolled: 1-line block ×12, first 2 shown]
	ds_store_b128 v174, v[36:39]
	ds_store_b128 v174, v[48:51] offset:3888
	ds_store_b128 v174, v[40:43] offset:11664
	;; [unrolled: 1-line block ×8, first 2 shown]
	global_wb scope:SCOPE_SE
	s_wait_dscnt 0x0
	s_barrier_signal -1
	s_barrier_wait -1
	global_inv scope:SCOPE_SE
	ds_load_b128 v[36:39], v174 offset:11664
	ds_load_b128 v[40:43], v174 offset:23328
	;; [unrolled: 1-line block ×7, first 2 shown]
	s_wait_dscnt 0x6
	v_mul_f64_e32 v[0:1], v[154:155], v[38:39]
	s_wait_dscnt 0x5
	v_mul_f64_e32 v[2:3], v[150:151], v[42:43]
	v_mul_f64_e32 v[64:65], v[154:155], v[36:37]
	v_mul_f64_e32 v[66:67], v[150:151], v[40:41]
	s_wait_dscnt 0x4
	v_mul_f64_e32 v[68:69], v[162:163], v[46:47]
	s_wait_dscnt 0x3
	v_mul_f64_e32 v[70:71], v[158:159], v[50:51]
	v_mul_f64_e32 v[72:73], v[162:163], v[44:45]
	v_mul_f64_e32 v[74:75], v[158:159], v[48:49]
	;; [unrolled: 6-line block ×3, first 2 shown]
	v_fma_f64 v[0:1], v[152:153], v[36:37], v[0:1]
	v_fma_f64 v[2:3], v[148:149], v[40:41], v[2:3]
	v_fma_f64 v[64:65], v[152:153], v[38:39], -v[64:65]
	v_fma_f64 v[66:67], v[148:149], v[42:43], -v[66:67]
	v_fma_f64 v[44:45], v[160:161], v[44:45], v[68:69]
	v_fma_f64 v[48:49], v[156:157], v[48:49], v[70:71]
	v_fma_f64 v[46:47], v[160:161], v[46:47], -v[72:73]
	v_fma_f64 v[50:51], v[156:157], v[50:51], -v[74:75]
	;; [unrolled: 4-line block ×3, first 2 shown]
	ds_load_b128 v[36:39], v174
	ds_load_b128 v[40:43], v174 offset:3888
	s_wait_dscnt 0x1
	v_add_f64_e32 v[80:81], v[36:37], v[0:1]
	v_add_f64_e32 v[68:69], v[0:1], v[2:3]
	v_add_f64_e64 v[0:1], v[0:1], -v[2:3]
	v_add_f64_e32 v[70:71], v[64:65], v[66:67]
	v_add_f64_e64 v[82:83], v[64:65], -v[66:67]
	v_add_f64_e32 v[72:73], v[44:45], v[48:49]
	v_add_f64_e32 v[64:65], v[38:39], v[64:65]
	;; [unrolled: 1-line block ×3, first 2 shown]
	s_wait_dscnt 0x0
	v_add_f64_e32 v[84:85], v[40:41], v[44:45]
	v_add_f64_e32 v[76:77], v[52:53], v[56:57]
	;; [unrolled: 1-line block ×4, first 2 shown]
	v_add_f64_e64 v[92:93], v[46:47], -v[50:51]
	v_add_f64_e64 v[94:95], v[44:45], -v[48:49]
	v_add_f64_e32 v[88:89], v[60:61], v[52:53]
	v_add_f64_e32 v[90:91], v[62:63], v[54:55]
	v_add_f64_e64 v[96:97], v[54:55], -v[58:59]
	v_add_f64_e64 v[98:99], v[52:53], -v[56:57]
	v_fma_f64 v[68:69], v[68:69], -0.5, v[36:37]
	v_add_f64_e32 v[36:37], v[80:81], v[2:3]
	v_fma_f64 v[70:71], v[70:71], -0.5, v[38:39]
	v_fma_f64 v[72:73], v[72:73], -0.5, v[40:41]
	v_add_f64_e32 v[38:39], v[64:65], v[66:67]
	v_fma_f64 v[74:75], v[74:75], -0.5, v[42:43]
	v_add_f64_e32 v[40:41], v[84:85], v[48:49]
	v_fma_f64 v[76:77], v[76:77], -0.5, v[60:61]
	v_add_f64_e32 v[42:43], v[86:87], v[50:51]
	v_fma_f64 v[78:79], v[78:79], -0.5, v[62:63]
	v_add_f64_e32 v[44:45], v[88:89], v[56:57]
	v_add_f64_e32 v[46:47], v[90:91], v[58:59]
	v_fma_f64 v[52:53], v[82:83], s[2:3], v[68:69]
	v_fma_f64 v[48:49], v[82:83], s[12:13], v[68:69]
	;; [unrolled: 1-line block ×12, first 2 shown]
	ds_store_b128 v174, v[36:39]
	ds_store_b128 v174, v[40:43] offset:3888
	ds_store_b128 v174, v[52:55] offset:23328
	;; [unrolled: 1-line block ×8, first 2 shown]
	global_wb scope:SCOPE_SE
	s_wait_dscnt 0x0
	s_barrier_signal -1
	s_barrier_wait -1
	global_inv scope:SCOPE_SE
	ds_load_b128 v[36:39], v174
	scratch_load_b64 v[72:73], off, off th:TH_LOAD_LU ; 8-byte Folded Reload
	ds_load_b128 v[40:43], v174 offset:11664
	ds_load_b128 v[44:47], v174 offset:23328
	scratch_load_b32 v74, off, off offset:8 th:TH_LOAD_LU ; 4-byte Folded Reload
	ds_load_b128 v[48:51], v174 offset:3888
	ds_load_b128 v[52:55], v174 offset:15552
	;; [unrolled: 1-line block ×6, first 2 shown]
	s_mul_i32 s2, s5, 0xffffb410
	s_wait_dscnt 0x7
	v_mul_f64_e32 v[76:77], v[26:27], v[42:43]
	v_mul_f64_e32 v[26:27], v[26:27], v[40:41]
	s_wait_dscnt 0x6
	v_mul_f64_e32 v[78:79], v[22:23], v[46:47]
	v_mul_f64_e32 v[22:23], v[22:23], v[44:45]
	;; [unrolled: 3-line block ×8, first 2 shown]
	s_delay_alu instid0(VALU_DEP_3) | instskip(NEXT) | instid1(VALU_DEP_2)
	v_fma_f64 v[30:31], v[28:29], v[66:67], -v[30:31]
	v_fma_f64 v[34:35], v[32:33], v[70:71], -v[34:35]
	s_wait_loadcnt 0x1
	v_mad_co_u64_u32 v[0:1], null, s6, v72, 0
	s_wait_loadcnt 0x0
	v_mad_co_u64_u32 v[2:3], null, s4, v74, 0
	s_delay_alu instid0(VALU_DEP_1) | instskip(NEXT) | instid1(VALU_DEP_2)
	v_mad_co_u64_u32 v[72:73], null, s7, v72, v[1:2]
	v_mad_co_u64_u32 v[73:74], null, s5, v74, v[3:4]
	v_mul_f64_e32 v[74:75], v[10:11], v[38:39]
	v_mul_f64_e32 v[10:11], v[10:11], v[36:37]
	s_delay_alu instid0(VALU_DEP_4) | instskip(NEXT) | instid1(VALU_DEP_4)
	v_mov_b32_e32 v1, v72
	v_mov_b32_e32 v3, v73
	s_delay_alu instid0(VALU_DEP_2) | instskip(NEXT) | instid1(VALU_DEP_2)
	v_lshlrev_b64_e32 v[0:1], 4, v[0:1]
	v_lshlrev_b64_e32 v[2:3], 4, v[2:3]
	s_delay_alu instid0(VALU_DEP_2) | instskip(SKIP_1) | instid1(VALU_DEP_3)
	v_add_co_u32 v0, vcc_lo, s0, v0
	s_wait_alu 0xfffd
	v_add_co_ci_u32_e32 v1, vcc_lo, s1, v1, vcc_lo
	s_mul_u64 s[0:1], s[4:5], 0x2d90
	s_delay_alu instid0(VALU_DEP_2) | instskip(SKIP_1) | instid1(VALU_DEP_2)
	v_add_co_u32 v72, vcc_lo, v0, v2
	s_wait_alu 0xfffd
	v_add_co_ci_u32_e32 v73, vcc_lo, v1, v3, vcc_lo
	s_wait_alu 0xfffe
	s_sub_co_i32 s5, s2, s4
	s_mov_b32 s2, 0x80feb65f
	s_mov_b32 s3, 0x3f3df756
	s_wait_alu 0xfffe
	v_mul_f64_e32 v[30:31], s[2:3], v[30:31]
	v_mul_f64_e32 v[34:35], s[2:3], v[34:35]
	v_fma_f64 v[0:1], v[8:9], v[36:37], v[74:75]
	v_fma_f64 v[2:3], v[8:9], v[38:39], -v[10:11]
	v_fma_f64 v[8:9], v[24:25], v[40:41], v[76:77]
	v_fma_f64 v[10:11], v[24:25], v[42:43], -v[26:27]
	;; [unrolled: 2-line block ×7, first 2 shown]
	v_fma_f64 v[48:49], v[28:29], v[64:65], v[90:91]
	v_fma_f64 v[50:51], v[32:33], v[68:69], v[92:93]
	v_add_co_u32 v52, vcc_lo, v72, s0
	s_wait_alu 0xfffd
	v_add_co_ci_u32_e32 v53, vcc_lo, s1, v73, vcc_lo
	s_delay_alu instid0(VALU_DEP_2) | instskip(SKIP_1) | instid1(VALU_DEP_2)
	v_add_co_u32 v54, vcc_lo, v52, s0
	s_wait_alu 0xfffd
	v_add_co_ci_u32_e32 v55, vcc_lo, s1, v53, vcc_lo
	s_delay_alu instid0(VALU_DEP_1) | instskip(NEXT) | instid1(VALU_DEP_1)
	v_mad_co_u64_u32 v[56:57], null, 0xffffb410, s4, v[54:55]
	v_add_nc_u32_e32 v57, s5, v57
	v_mul_f64_e32 v[0:1], s[2:3], v[0:1]
	v_mul_f64_e32 v[2:3], s[2:3], v[2:3]
	v_mul_f64_e32 v[4:5], s[2:3], v[8:9]
	v_mul_f64_e32 v[6:7], s[2:3], v[10:11]
	v_mul_f64_e32 v[8:9], s[2:3], v[24:25]
	v_mul_f64_e32 v[10:11], s[2:3], v[20:21]
	v_mul_f64_e32 v[12:13], s[2:3], v[22:23]
	v_mul_f64_e32 v[14:15], s[2:3], v[26:27]
	v_mul_f64_e32 v[16:17], s[2:3], v[36:37]
	v_mul_f64_e32 v[18:19], s[2:3], v[38:39]
	v_mul_f64_e32 v[20:21], s[2:3], v[40:41]
	v_mul_f64_e32 v[22:23], s[2:3], v[42:43]
	v_mul_f64_e32 v[24:25], s[2:3], v[44:45]
	v_mul_f64_e32 v[26:27], s[2:3], v[46:47]
	v_mul_f64_e32 v[28:29], s[2:3], v[48:49]
	v_mul_f64_e32 v[32:33], s[2:3], v[50:51]
	v_add_co_u32 v36, vcc_lo, v56, s0
	s_wait_alu 0xfffd
	v_add_co_ci_u32_e32 v37, vcc_lo, s1, v57, vcc_lo
	s_delay_alu instid0(VALU_DEP_2) | instskip(SKIP_1) | instid1(VALU_DEP_2)
	v_add_co_u32 v38, vcc_lo, v36, s0
	s_wait_alu 0xfffd
	v_add_co_ci_u32_e32 v39, vcc_lo, s1, v37, vcc_lo
	s_delay_alu instid0(VALU_DEP_1) | instskip(NEXT) | instid1(VALU_DEP_1)
	v_mad_co_u64_u32 v[40:41], null, 0xffffb410, s4, v[38:39]
	v_add_nc_u32_e32 v41, s5, v41
	s_delay_alu instid0(VALU_DEP_2) | instskip(SKIP_1) | instid1(VALU_DEP_2)
	v_add_co_u32 v42, vcc_lo, v40, s0
	s_wait_alu 0xfffd
	v_add_co_ci_u32_e32 v43, vcc_lo, s1, v41, vcc_lo
	s_delay_alu instid0(VALU_DEP_2) | instskip(SKIP_1) | instid1(VALU_DEP_2)
	v_add_co_u32 v44, vcc_lo, v42, s0
	s_wait_alu 0xfffd
	v_add_co_ci_u32_e32 v45, vcc_lo, s1, v43, vcc_lo
	s_clause 0x4
	global_store_b128 v[72:73], v[0:3], off
	global_store_b128 v[52:53], v[4:7], off
	;; [unrolled: 1-line block ×9, first 2 shown]
.LBB0_2:
	s_nop 0
	s_sendmsg sendmsg(MSG_DEALLOC_VGPRS)
	s_endpgm
	.section	.rodata,"a",@progbits
	.p2align	6, 0x0
	.amdhsa_kernel bluestein_single_back_len2187_dim1_dp_op_CI_CI
		.amdhsa_group_segment_fixed_size 34992
		.amdhsa_private_segment_fixed_size 20
		.amdhsa_kernarg_size 104
		.amdhsa_user_sgpr_count 2
		.amdhsa_user_sgpr_dispatch_ptr 0
		.amdhsa_user_sgpr_queue_ptr 0
		.amdhsa_user_sgpr_kernarg_segment_ptr 1
		.amdhsa_user_sgpr_dispatch_id 0
		.amdhsa_user_sgpr_private_segment_size 0
		.amdhsa_wavefront_size32 1
		.amdhsa_uses_dynamic_stack 0
		.amdhsa_enable_private_segment 1
		.amdhsa_system_sgpr_workgroup_id_x 1
		.amdhsa_system_sgpr_workgroup_id_y 0
		.amdhsa_system_sgpr_workgroup_id_z 0
		.amdhsa_system_sgpr_workgroup_info 0
		.amdhsa_system_vgpr_workitem_id 0
		.amdhsa_next_free_vgpr 256
		.amdhsa_next_free_sgpr 20
		.amdhsa_reserve_vcc 1
		.amdhsa_float_round_mode_32 0
		.amdhsa_float_round_mode_16_64 0
		.amdhsa_float_denorm_mode_32 3
		.amdhsa_float_denorm_mode_16_64 3
		.amdhsa_fp16_overflow 0
		.amdhsa_workgroup_processor_mode 1
		.amdhsa_memory_ordered 1
		.amdhsa_forward_progress 0
		.amdhsa_round_robin_scheduling 0
		.amdhsa_exception_fp_ieee_invalid_op 0
		.amdhsa_exception_fp_denorm_src 0
		.amdhsa_exception_fp_ieee_div_zero 0
		.amdhsa_exception_fp_ieee_overflow 0
		.amdhsa_exception_fp_ieee_underflow 0
		.amdhsa_exception_fp_ieee_inexact 0
		.amdhsa_exception_int_div_zero 0
	.end_amdhsa_kernel
	.text
.Lfunc_end0:
	.size	bluestein_single_back_len2187_dim1_dp_op_CI_CI, .Lfunc_end0-bluestein_single_back_len2187_dim1_dp_op_CI_CI
                                        ; -- End function
	.section	.AMDGPU.csdata,"",@progbits
; Kernel info:
; codeLenInByte = 12920
; NumSgprs: 22
; NumVgprs: 256
; ScratchSize: 20
; MemoryBound: 0
; FloatMode: 240
; IeeeMode: 1
; LDSByteSize: 34992 bytes/workgroup (compile time only)
; SGPRBlocks: 2
; VGPRBlocks: 31
; NumSGPRsForWavesPerEU: 22
; NumVGPRsForWavesPerEU: 256
; Occupancy: 5
; WaveLimiterHint : 1
; COMPUTE_PGM_RSRC2:SCRATCH_EN: 1
; COMPUTE_PGM_RSRC2:USER_SGPR: 2
; COMPUTE_PGM_RSRC2:TRAP_HANDLER: 0
; COMPUTE_PGM_RSRC2:TGID_X_EN: 1
; COMPUTE_PGM_RSRC2:TGID_Y_EN: 0
; COMPUTE_PGM_RSRC2:TGID_Z_EN: 0
; COMPUTE_PGM_RSRC2:TIDIG_COMP_CNT: 0
	.text
	.p2alignl 7, 3214868480
	.fill 96, 4, 3214868480
	.type	__hip_cuid_6643f5c0ee984292,@object ; @__hip_cuid_6643f5c0ee984292
	.section	.bss,"aw",@nobits
	.globl	__hip_cuid_6643f5c0ee984292
__hip_cuid_6643f5c0ee984292:
	.byte	0                               ; 0x0
	.size	__hip_cuid_6643f5c0ee984292, 1

	.ident	"AMD clang version 19.0.0git (https://github.com/RadeonOpenCompute/llvm-project roc-6.4.0 25133 c7fe45cf4b819c5991fe208aaa96edf142730f1d)"
	.section	".note.GNU-stack","",@progbits
	.addrsig
	.addrsig_sym __hip_cuid_6643f5c0ee984292
	.amdgpu_metadata
---
amdhsa.kernels:
  - .args:
      - .actual_access:  read_only
        .address_space:  global
        .offset:         0
        .size:           8
        .value_kind:     global_buffer
      - .actual_access:  read_only
        .address_space:  global
        .offset:         8
        .size:           8
        .value_kind:     global_buffer
      - .actual_access:  read_only
        .address_space:  global
        .offset:         16
        .size:           8
        .value_kind:     global_buffer
      - .actual_access:  read_only
        .address_space:  global
        .offset:         24
        .size:           8
        .value_kind:     global_buffer
      - .actual_access:  read_only
        .address_space:  global
        .offset:         32
        .size:           8
        .value_kind:     global_buffer
      - .offset:         40
        .size:           8
        .value_kind:     by_value
      - .address_space:  global
        .offset:         48
        .size:           8
        .value_kind:     global_buffer
      - .address_space:  global
        .offset:         56
        .size:           8
        .value_kind:     global_buffer
      - .address_space:  global
        .offset:         64
        .size:           8
        .value_kind:     global_buffer
      - .address_space:  global
        .offset:         72
        .size:           8
        .value_kind:     global_buffer
      - .offset:         80
        .size:           4
        .value_kind:     by_value
      - .address_space:  global
        .offset:         88
        .size:           8
        .value_kind:     global_buffer
      - .address_space:  global
        .offset:         96
        .size:           8
        .value_kind:     global_buffer
    .group_segment_fixed_size: 34992
    .kernarg_segment_align: 8
    .kernarg_segment_size: 104
    .language:       OpenCL C
    .language_version:
      - 2
      - 0
    .max_flat_workgroup_size: 243
    .name:           bluestein_single_back_len2187_dim1_dp_op_CI_CI
    .private_segment_fixed_size: 20
    .sgpr_count:     22
    .sgpr_spill_count: 0
    .symbol:         bluestein_single_back_len2187_dim1_dp_op_CI_CI.kd
    .uniform_work_group_size: 1
    .uses_dynamic_stack: false
    .vgpr_count:     256
    .vgpr_spill_count: 4
    .wavefront_size: 32
    .workgroup_processor_mode: 1
amdhsa.target:   amdgcn-amd-amdhsa--gfx1201
amdhsa.version:
  - 1
  - 2
...

	.end_amdgpu_metadata
